;; amdgpu-corpus repo=ggml-org/llama.cpp kind=compiled arch=gfx1030 opt=O3
	.amdgcn_target "amdgcn-amd-amdhsa--gfx1030"
	.amdhsa_code_object_version 6
	.section	.text._ZL15flash_attn_tileILi320ELi256ELi1ELi32ELb0EEvPKcS1_S1_S1_S1_PKiPfP15HIP_vector_typeIfLj2EEffffjfiS5_IjLj3EEiiiiiiiiiiiliiliiiiil,"axG",@progbits,_ZL15flash_attn_tileILi320ELi256ELi1ELi32ELb0EEvPKcS1_S1_S1_S1_PKiPfP15HIP_vector_typeIfLj2EEffffjfiS5_IjLj3EEiiiiiiiiiiiliiliiiiil,comdat
	.globl	_ZL15flash_attn_tileILi320ELi256ELi1ELi32ELb0EEvPKcS1_S1_S1_S1_PKiPfP15HIP_vector_typeIfLj2EEffffjfiS5_IjLj3EEiiiiiiiiiiiliiliiiiil ; -- Begin function _ZL15flash_attn_tileILi320ELi256ELi1ELi32ELb0EEvPKcS1_S1_S1_S1_PKiPfP15HIP_vector_typeIfLj2EEffffjfiS5_IjLj3EEiiiiiiiiiiiliiliiiiil
	.p2align	8
	.type	_ZL15flash_attn_tileILi320ELi256ELi1ELi32ELb0EEvPKcS1_S1_S1_S1_PKiPfP15HIP_vector_typeIfLj2EEffffjfiS5_IjLj3EEiiiiiiiiiiiliiliiiiil,@function
_ZL15flash_attn_tileILi320ELi256ELi1ELi32ELb0EEvPKcS1_S1_S1_S1_PKiPfP15HIP_vector_typeIfLj2EEffffjfiS5_IjLj3EEiiiiiiiiiiiliiliiiiil: ; @_ZL15flash_attn_tileILi320ELi256ELi1ELi32ELb0EEvPKcS1_S1_S1_S1_PKiPfP15HIP_vector_typeIfLj2EEffffjfiS5_IjLj3EEiiiiiiiiiiiliiliiiiil
; %bb.0:
	s_clause 0x1
	s_load_dwordx4 s[24:27], s[4:5], 0x5c
	s_load_dwordx2 s[30:31], s[4:5], 0x80
	s_mov_b32 s28, s7
	s_mov_b64 s[34:35], 0
	s_waitcnt lgkmcnt(0)
	s_ashr_i32 s0, s27, 31
	s_lshr_b32 s0, s0, 27
	s_add_i32 s0, s27, s0
	s_ashr_i32 s0, s0, 5
	v_cvt_f32_u32_e32 v2, s0
	s_sub_i32 s2, 0, s0
	v_rcp_iflag_f32_e32 v2, v2
	v_mul_f32_e32 v2, 0x4f7ffffe, v2
	v_cvt_u32_f32_e32 v2, v2
	v_readfirstlane_b32 s1, v2
	s_mul_i32 s2, s2, s1
	s_mul_hi_u32 s2, s1, s2
	s_add_i32 s1, s1, s2
	s_mul_hi_u32 s1, s8, s1
	s_mul_i32 s2, s1, s0
	s_add_i32 s3, s1, 1
	s_sub_i32 s2, s8, s2
	s_sub_i32 s7, s2, s0
	s_cmp_ge_u32 s2, s0
	s_cselect_b32 s1, s3, s1
	s_cselect_b32 s2, s7, s2
	s_add_i32 s3, s1, 1
	s_cmp_ge_u32 s2, s0
	s_cselect_b32 s29, s3, s1
	s_abs_i32 s0, s31
	s_lshl_b32 s3, s8, 5
	v_cvt_f32_u32_e32 v2, s0
	s_sub_i32 s2, 0, s0
	s_abs_i32 s8, s27
	s_mul_i32 s7, s29, s27
	v_rcp_iflag_f32_e32 v2, v2
	s_sub_i32 s33, s3, s7
	v_mul_f32_e32 v2, 0x4f7ffffe, v2
	v_cvt_u32_f32_e32 v2, v2
	v_readfirstlane_b32 s1, v2
	s_mul_i32 s2, s2, s1
	s_mul_hi_u32 s2, s1, s2
	s_add_i32 s1, s1, s2
	s_xor_b32 s2, s27, s31
	s_mul_hi_u32 s1, s8, s1
	s_ashr_i32 s2, s2, 31
	s_mul_i32 s3, s1, s0
	s_add_i32 s7, s1, 1
	s_sub_i32 s3, s8, s3
	s_sub_i32 s8, s3, s0
	s_cmp_ge_u32 s3, s0
	s_cselect_b32 s1, s7, s1
	s_cselect_b32 s3, s8, s3
	s_add_i32 s7, s1, 1
	s_cmp_ge_u32 s3, s0
	s_clause 0x1
	s_load_dwordx16 s[8:23], s[4:5], 0x0
	s_load_dwordx2 s[36:37], s[4:5], 0xb8
	s_cselect_b32 s0, s7, s1
	s_xor_b32 s0, s0, s2
	s_sub_i32 s31, s0, s2
	s_abs_i32 s7, s31
	v_cvt_f32_u32_e32 v2, s7
	v_rcp_iflag_f32_e32 v2, v2
	s_waitcnt lgkmcnt(0)
	s_cmp_eq_u64 s[14:15], 0
	v_mul_f32_e32 v2, 0x4f7ffffe, v2
	v_cvt_u32_f32_e32 v2, v2
	v_readfirstlane_b32 s38, v2
	s_cbranch_scc1 .LBB0_2
; %bb.1:
	s_abs_i32 s2, s36
	s_abs_i32 s3, s29
	v_cvt_f32_u32_e32 v2, s2
	s_sub_i32 s1, 0, s2
	v_rcp_iflag_f32_e32 v2, v2
	v_mul_f32_e32 v2, 0x4f7ffffe, v2
	v_cvt_u32_f32_e32 v2, v2
	v_readfirstlane_b32 s0, v2
	s_mul_i32 s1, s1, s0
	s_mul_hi_u32 s1, s0, s1
	s_add_i32 s0, s0, s1
	s_mul_hi_u32 s34, s3, s0
	s_load_dwordx2 s[0:1], s[4:5], 0xc8
	s_mul_i32 s34, s34, s2
	s_sub_i32 s3, s3, s34
	s_ashr_i32 s34, s29, 31
	s_sub_i32 s35, s3, s2
	s_cmp_ge_u32 s3, s2
	s_cselect_b32 s3, s35, s3
	s_sub_i32 s35, s3, s2
	s_cmp_ge_u32 s3, s2
	s_cselect_b32 s2, s35, s3
	s_xor_b32 s2, s2, s34
	s_sub_i32 s2, s2, s34
	s_ashr_i32 s3, s2, 31
	s_waitcnt lgkmcnt(0)
	s_mul_hi_u32 s34, s0, s2
	s_mul_i32 s3, s0, s3
	s_mul_i32 s1, s1, s2
	s_add_i32 s3, s34, s3
	s_mul_i32 s0, s0, s2
	s_add_i32 s3, s3, s1
	s_add_u32 s34, s14, s0
	s_addc_u32 s35, s15, s3
.LBB0_2:
	v_lshrrev_b32_e32 v2, 3, v1
	s_load_dwordx4 s[0:3], s[4:5], 0x70
	v_lshlrev_b32_e32 v5, 2, v1
	v_lshlrev_b32_e32 v8, 4, v0
	;; [unrolled: 1-line block ×3, first 2 shown]
	v_add_nc_u32_e32 v13, s6, v2
	v_mul_u32_u24_e32 v33, 0xa00, v1
	v_and_b32_e32 v12, 28, v5
	v_mul_hi_u32 v2, s24, v13
	v_add_nc_u32_e32 v2, v13, v2
	s_waitcnt lgkmcnt(0)
	s_mul_i32 s2, s29, s2
	s_mul_i32 s3, s33, s1
	v_lshrrev_b32_e32 v2, s25, v2
	s_ashr_i32 s15, s2, 31
	s_add_u32 s2, s8, s2
	s_addc_u32 s8, s9, s15
	s_ashr_i32 s9, s3, 31
	v_mul_lo_u32 v2, v2, s26
	s_add_u32 s24, s2, s3
	s_mov_b32 s14, s1
	s_addc_u32 s8, s8, s9
	s_ashr_i32 s15, s1, 31
	s_ashr_i32 s1, s0, 31
	s_lshr_b64 s[2:3], s[0:1], 2
	v_sub_nc_u32_e32 v4, v13, v2
	s_lshr_b32 s0, s1, 2
	s_load_dword s1, s[4:5], 0x40
	v_mad_u64_u32 v[2:3], null, s2, v4, 0
	s_lshr_b64 s[2:3], s[14:15], 2
	v_mad_u64_u32 v[6:7], null, s0, v4, v[3:4]
	v_mov_b32_e32 v3, v6
	v_mad_u64_u32 v[6:7], null, s2, v12, 0
	v_lshlrev_b64 v[2:3], 2, v[2:3]
	v_mad_i32_i24 v7, s15, v12, v7
	v_add_co_u32 v9, vcc_lo, s24, v2
	v_add_co_ci_u32_e64 v10, null, s8, v3, vcc_lo
	v_lshlrev_b64 v[2:3], 2, v[6:7]
	v_add_co_u32 v6, vcc_lo, v9, v8
	v_add_co_ci_u32_e64 v7, null, 0, v10, vcc_lo
	v_add_co_u32 v2, vcc_lo, v6, v2
	v_add_co_ci_u32_e64 v3, null, v7, v3, vcc_lo
	v_cmp_gt_u32_e32 vcc_lo, 16, v0
	s_clause 0x1
	global_load_dwordx4 v[8:11], v[2:3], off
	global_load_dwordx4 v[14:17], v[2:3], off offset:512
	s_waitcnt vmcnt(1) lgkmcnt(0)
	v_fma_mixlo_f16 v8, s1, v8, 0
	v_fma_mixlo_f16 v9, s1, v9, 0
	s_waitcnt vmcnt(0)
	v_fma_mixlo_f16 v14, s1, v14, 0
	v_fma_mixlo_f16 v15, s1, v15, 0
	;; [unrolled: 1-line block ×6, first 2 shown]
	v_lshlrev_b32_e32 v9, 16, v9
	v_and_b32_e32 v8, 0xffff, v8
	v_lshlrev_b32_e32 v15, 16, v15
	v_and_b32_e32 v14, 0xffff, v14
	;; [unrolled: 2-line block ×4, first 2 shown]
	v_or_b32_e32 v8, v9, v8
	v_or_b32_e32 v14, v15, v14
	v_mad_u32_u24 v15, 0xa00, v1, v24
	v_or3_b32 v9, v11, v10, 0
	v_or3_b32 v11, v17, v16, 0
	;; [unrolled: 1-line block ×4, first 2 shown]
	ds_write2_b64 v15, v[8:9], v[10:11] offset1:32
	s_and_saveexec_b32 s0, vcc_lo
	s_cbranch_execz .LBB0_4
; %bb.3:
	global_load_dwordx4 v[8:11], v[2:3], off offset:1024
	s_waitcnt vmcnt(0)
	v_fma_mixlo_f16 v2, s1, v9, 0
	v_fma_mixlo_f16 v3, s1, v8, 0
	;; [unrolled: 1-line block ×4, first 2 shown]
	v_lshlrev_b32_e32 v2, 16, v2
	v_and_b32_e32 v3, 0xffff, v3
	v_and_b32_e32 v8, 0xffff, v8
	v_lshlrev_b32_e32 v9, 16, v9
	v_or_b32_e32 v2, v2, v3
	v_or3_b32 v3, v9, v8, 0
	v_add_nc_u32_e32 v8, v24, v33
	v_or3_b32 v2, 0, 0, v2
	ds_write_b64 v8, v[2:3] offset:512
.LBB0_4:
	s_or_b32 exec_lo, exec_lo, s0
	v_or_b32_e32 v18, 1, v5
	v_and_b32_e32 v8, 29, v18
	v_mul_u32_u24_e32 v19, 0x280, v18
	v_mad_u32_u24 v18, 0x280, v18, v24
	v_mad_u64_u32 v[2:3], null, s2, v8, 0
	v_mad_u64_u32 v[8:9], null, s3, v8, v[3:4]
	v_mov_b32_e32 v3, v8
	v_lshlrev_b64 v[2:3], 2, v[2:3]
	v_add_co_u32 v2, s0, v6, v2
	v_add_co_ci_u32_e64 v3, null, v7, v3, s0
	s_clause 0x1
	global_load_dwordx4 v[8:11], v[2:3], off
	global_load_dwordx4 v[14:17], v[2:3], off offset:512
	s_waitcnt vmcnt(1)
	v_fma_mixlo_f16 v8, s1, v8, 0
	v_fma_mixlo_f16 v9, s1, v9, 0
	s_waitcnt vmcnt(0)
	v_fma_mixlo_f16 v14, s1, v14, 0
	v_fma_mixlo_f16 v15, s1, v15, 0
	;; [unrolled: 1-line block ×6, first 2 shown]
	v_lshlrev_b32_e32 v9, 16, v9
	v_and_b32_e32 v8, 0xffff, v8
	v_lshlrev_b32_e32 v15, 16, v15
	v_and_b32_e32 v14, 0xffff, v14
	;; [unrolled: 2-line block ×4, first 2 shown]
	v_or_b32_e32 v8, v9, v8
	v_or_b32_e32 v14, v15, v14
	v_or3_b32 v10, v11, v10, 0
	v_or3_b32 v15, v17, v16, 0
	;; [unrolled: 1-line block ×4, first 2 shown]
	v_add_nc_u32_e32 v8, v24, v19
	ds_write2_b64 v18, v[9:10], v[14:15] offset1:32
	s_and_saveexec_b32 s0, vcc_lo
	s_cbranch_execz .LBB0_6
; %bb.5:
	global_load_dwordx4 v[14:17], v[2:3], off offset:1024
	s_waitcnt vmcnt(0)
	v_fma_mixlo_f16 v2, s1, v15, 0
	v_fma_mixlo_f16 v3, s1, v14, 0
	;; [unrolled: 1-line block ×4, first 2 shown]
	v_lshlrev_b32_e32 v2, 16, v2
	v_and_b32_e32 v3, 0xffff, v3
	v_and_b32_e32 v9, 0xffff, v9
	v_lshlrev_b32_e32 v10, 16, v10
	v_or_b32_e32 v2, v2, v3
	v_or3_b32 v3, v10, v9, 0
	v_or3_b32 v2, 0, 0, v2
	ds_write_b64 v8, v[2:3] offset:512
.LBB0_6:
	s_or_b32 exec_lo, exec_lo, s0
	v_or_b32_e32 v2, 2, v5
	v_and_b32_e32 v9, 30, v2
	v_mad_u64_u32 v[2:3], null, s2, v9, 0
	v_mad_u64_u32 v[9:10], null, s3, v9, v[3:4]
	v_mov_b32_e32 v3, v9
	v_lshlrev_b64 v[2:3], 2, v[2:3]
	v_add_co_u32 v2, s0, v6, v2
	v_add_co_ci_u32_e64 v3, null, v7, v3, s0
	s_clause 0x1
	global_load_dwordx4 v[14:17], v[2:3], off
	global_load_dwordx4 v[18:21], v[2:3], off offset:512
	s_waitcnt vmcnt(1)
	v_fma_mixlo_f16 v9, s1, v14, 0
	v_fma_mixlo_f16 v10, s1, v15, 0
	;; [unrolled: 1-line block ×3, first 2 shown]
	s_waitcnt vmcnt(0)
	v_fma_mixlo_f16 v15, s1, v18, 0
	v_fma_mixlo_f16 v16, s1, v19, 0
	;; [unrolled: 1-line block ×5, first 2 shown]
	v_lshlrev_b32_e32 v10, 16, v10
	v_and_b32_e32 v9, 0xffff, v9
	v_lshlrev_b32_e32 v16, 16, v16
	v_and_b32_e32 v15, 0xffff, v15
	;; [unrolled: 2-line block ×4, first 2 shown]
	v_or_b32_e32 v9, v10, v9
	v_or_b32_e32 v16, v16, v15
	v_or3_b32 v10, v14, v11, 0
	v_or3_b32 v15, v18, v17, 0
	;; [unrolled: 1-line block ×4, first 2 shown]
	ds_write2_b64 v8, v[9:10], v[14:15] offset0:80 offset1:112
	s_and_saveexec_b32 s0, vcc_lo
	s_cbranch_execz .LBB0_8
; %bb.7:
	global_load_dwordx4 v[14:17], v[2:3], off offset:1024
	s_waitcnt vmcnt(0)
	v_fma_mixlo_f16 v2, s1, v15, 0
	v_fma_mixlo_f16 v3, s1, v14, 0
	;; [unrolled: 1-line block ×4, first 2 shown]
	v_lshlrev_b32_e32 v2, 16, v2
	v_and_b32_e32 v3, 0xffff, v3
	v_and_b32_e32 v9, 0xffff, v9
	v_lshlrev_b32_e32 v10, 16, v10
	v_or_b32_e32 v2, v2, v3
	v_or3_b32 v3, v10, v9, 0
	v_or3_b32 v2, 0, 0, v2
	ds_write_b64 v8, v[2:3] offset:1152
.LBB0_8:
	s_or_b32 exec_lo, exec_lo, s0
	v_or_b32_e32 v2, 3, v5
	v_and_b32_e32 v9, 31, v2
	v_mad_u64_u32 v[2:3], null, s2, v9, 0
	v_mad_u64_u32 v[9:10], null, s3, v9, v[3:4]
	v_mov_b32_e32 v3, v9
	v_lshlrev_b64 v[2:3], 2, v[2:3]
	v_add_co_u32 v2, s0, v6, v2
	v_add_co_ci_u32_e64 v3, null, v7, v3, s0
	s_clause 0x1
	global_load_dwordx4 v[14:17], v[2:3], off
	global_load_dwordx4 v[18:21], v[2:3], off offset:512
	s_waitcnt vmcnt(1)
	v_fma_mixlo_f16 v6, s1, v14, 0
	v_fma_mixlo_f16 v7, s1, v15, 0
	s_waitcnt vmcnt(0)
	v_fma_mixlo_f16 v11, s1, v18, 0
	v_fma_mixlo_f16 v14, s1, v19, 0
	;; [unrolled: 1-line block ×6, first 2 shown]
	v_lshlrev_b32_e32 v7, 16, v7
	v_and_b32_e32 v6, 0xffff, v6
	v_lshlrev_b32_e32 v14, 16, v14
	v_and_b32_e32 v11, 0xffff, v11
	;; [unrolled: 2-line block ×4, first 2 shown]
	v_or_b32_e32 v6, v7, v6
	v_or_b32_e32 v11, v14, v11
	v_or3_b32 v7, v10, v9, 0
	v_or3_b32 v10, v16, v15, 0
	;; [unrolled: 1-line block ×4, first 2 shown]
	ds_write2_b64 v8, v[6:7], v[9:10] offset0:160 offset1:192
	s_and_saveexec_b32 s0, vcc_lo
	s_cbranch_execz .LBB0_10
; %bb.9:
	global_load_dwordx4 v[14:17], v[2:3], off offset:1024
	s_waitcnt vmcnt(0)
	v_fma_mixlo_f16 v2, s1, v15, 0
	v_fma_mixlo_f16 v3, s1, v14, 0
	;; [unrolled: 1-line block ×4, first 2 shown]
	v_lshlrev_b32_e32 v2, 16, v2
	v_and_b32_e32 v3, 0xffff, v3
	v_and_b32_e32 v6, 0xffff, v6
	v_lshlrev_b32_e32 v7, 16, v7
	v_or_b32_e32 v2, v2, v3
	v_or3_b32 v3, v7, v6, 0
	v_or3_b32 v2, 0, 0, v2
	ds_write_b64 v8, v[2:3] offset:1792
.LBB0_10:
	s_or_b32 exec_lo, exec_lo, s0
	s_cmp_eq_u64 s[18:19], 0
	s_waitcnt lgkmcnt(0)
	s_barrier
	buffer_gl0_inv
	s_cbranch_scc1 .LBB0_12
; %bb.11:
	s_load_dword s0, s[4:5], 0xd0
	s_mov_b32 s1, 0
	s_waitcnt lgkmcnt(0)
	s_mul_i32 s0, s0, s29
	s_add_i32 s0, s0, s6
	s_lshl_b64 s[0:1], s[0:1], 2
	s_add_u32 s0, s18, s0
	s_addc_u32 s1, s19, s1
	s_load_dword s30, s[0:1], 0x0
.LBB0_12:
	v_lshlrev_b32_e32 v32, 2, v0
	v_mbcnt_lo_u32_b32 v34, -1, 0
	s_lshl_b32 s9, s28, 7
	s_waitcnt lgkmcnt(0)
	s_cmp_lt_i32 s9, s30
	s_cbranch_scc1 .LBB0_15
; %bb.13:
	v_mbcnt_lo_u32_b32 v7, -1, 0
	v_mov_b32_e32 v6, 32
	v_xor_b32_e32 v39, 16, v7
	v_xor_b32_e32 v38, 8, v7
	;; [unrolled: 1-line block ×5, first 2 shown]
	s_cbranch_execz .LBB0_16
; %bb.14:
	v_mov_b32_e32 v78, 0
	v_mov_b32_e32 v40, 0
	;; [unrolled: 1-line block ×24, first 2 shown]
	s_branch .LBB0_19
.LBB0_15:
                                        ; implicit-def: $vgpr7
                                        ; implicit-def: $vgpr6
                                        ; implicit-def: $vgpr39
                                        ; implicit-def: $vgpr38
                                        ; implicit-def: $vgpr37
                                        ; implicit-def: $vgpr36
                                        ; implicit-def: $vgpr35
.LBB0_16:
	s_clause 0x1
	s_load_dwordx4 s[0:3], s[4:5], 0x98
	s_load_dwordx2 s[18:19], s[4:5], 0x8c
	s_sub_i32 s6, 0, s7
	s_abs_i32 s8, s33
	s_mul_i32 s6, s6, s38
	s_ashr_i32 s36, s33, 31
	s_mul_hi_u32 s6, s38, s6
	s_ashr_i32 s31, s31, 31
	s_add_i32 s38, s38, s6
	s_ashr_i32 s6, s37, 1
	s_mul_hi_u32 s37, s8, s38
	s_ashr_i32 s38, s29, 31
	s_load_dwordx2 s[24:25], s[4:5], 0xa8
	s_mul_i32 s39, s37, s7
	v_lshrrev_b32_e32 v2, 3, v0
	v_and_b32_e32 v25, 28, v32
	v_lshlrev_b32_e32 v48, 2, v32
	v_lshl_add_u32 v50, v1, 10, 0x9800
	v_mov_b32_e32 v66, 0
	v_add_nc_u32_e32 v3, v2, v5
	s_waitcnt lgkmcnt(0)
	s_ashr_i32 s14, s2, 2
	s_ashr_i32 s15, s18, 2
	s_mul_hi_u32 s2, s0, s29
	s_mul_i32 s18, s0, s38
	s_mul_i32 s1, s1, s29
	s_add_i32 s2, s2, s18
	s_mul_i32 s0, s0, s29
	s_add_i32 s2, s2, s1
	s_add_u32 s0, s10, s0
	s_addc_u32 s1, s11, s2
	s_sub_i32 s8, s8, s39
	s_xor_b32 s2, s36, s31
	s_add_i32 s10, s37, 1
	s_sub_i32 s11, s8, s7
	s_cmp_ge_u32 s8, s7
	v_mul_lo_u32 v2, s15, v3
	s_cselect_b32 s10, s10, s37
	s_cselect_b32 s8, s11, s8
	s_add_i32 s11, s10, 1
	s_cmp_ge_u32 s8, s7
	s_mul_hi_u32 s8, s24, s29
	s_cselect_b32 s7, s11, s10
	s_mul_i32 s11, s25, s29
	s_xor_b32 s7, s7, s2
	v_mul_lo_u32 v16, s14, v1
	s_sub_i32 s2, s7, s2
	s_mul_i32 s7, s24, s38
	s_mul_i32 s10, s2, s19
	;; [unrolled: 1-line block ×3, first 2 shown]
	s_ashr_i32 s19, s10, 31
	s_add_u32 s18, s0, s10
	s_addc_u32 s19, s1, s19
	s_add_i32 s0, s8, s7
	s_mul_i32 s1, s24, s29
	s_add_i32 s0, s0, s11
	s_add_u32 s1, s12, s1
	s_addc_u32 s0, s13, s0
	s_ashr_i32 s3, s2, 31
	s_add_u32 s12, s1, s2
	s_addc_u32 s13, s0, s3
	s_lshl_b32 s0, s15, 5
	v_lshlrev_b32_e32 v5, 2, v25
	v_add_nc_u32_e32 v8, s0, v2
	v_lshl_add_u32 v7, v1, 9, v48
	v_ashrrev_i32_e32 v17, 31, v16
	s_movk_i32 s1, 0x5000
	v_mad_u32_u24 v5, 0x90, v3, v5
	v_add_nc_u32_e32 v10, s0, v8
	v_ashrrev_i32_e32 v3, 31, v2
	v_ashrrev_i32_e32 v9, 31, v8
	v_add_nc_u32_e32 v51, 0x5000, v7
	v_add_nc_u32_e32 v44, 0x5000, v5
	;; [unrolled: 1-line block ×3, first 2 shown]
	s_lshl_b32 s0, s14, 3
	v_ashrrev_i32_e32 v11, 31, v10
	v_add_nc_u32_e32 v18, s0, v16
	v_add_nc_u32_e32 v45, 0x6200, v5
	v_ashrrev_i32_e32 v15, 31, v14
	v_add_nc_u32_e32 v46, 0x7400, v5
	v_add_nc_u32_e32 v47, 0x8600, v5
	;; [unrolled: 1-line block ×3, first 2 shown]
	v_ashrrev_i32_e32 v19, 31, v18
	v_mad_u64_u32 v[5:6], null, v4, s6, v[0:1]
	v_add_nc_u32_e32 v52, 0x6000, v7
	v_add_nc_u32_e32 v22, s0, v20
	v_ashrrev_i32_e32 v21, 31, v20
	v_add_nc_u32_e32 v53, 0x7000, v7
	v_add_nc_u32_e32 v54, 0x8000, v7
	v_lshlrev_b64 v[6:7], 2, v[2:3]
	v_ashrrev_i32_e32 v23, 31, v22
	v_lshlrev_b64 v[8:9], 2, v[8:9]
	v_lshlrev_b64 v[10:11], 2, v[10:11]
	;; [unrolled: 1-line block ×7, first 2 shown]
	v_mad_u32_u24 v49, 0x90, v0, s1
	v_mov_b32_e32 v1, 0xfeffffff
	v_lshlrev_b32_e32 v55, 2, v25
	v_xor_b32_e32 v39, 16, v34
	v_xor_b32_e32 v38, 8, v34
	;; [unrolled: 1-line block ×5, first 2 shown]
	v_add_nc_u32_e32 v56, v50, v24
	v_mov_b32_e32 v57, 0x10001
	v_add_nc_u32_e32 v58, 0x5000, v24
	v_add_nc_u32_e32 v59, 0x5800, v24
	;; [unrolled: 1-line block ×8, first 2 shown]
	v_mov_b32_e32 v67, 0
	v_mov_b32_e32 v69, 0
	;; [unrolled: 1-line block ×22, first 2 shown]
	s_add_u32 s10, s4, 0xd0
	s_addc_u32 s11, s5, 0
.LBB0_17:                               ; =>This Inner Loop Header: Depth=1
	s_mul_hi_i32 s1, s9, s15
	s_mul_i32 s0, s9, s15
	v_mov_b32_e32 v94, 0
	s_lshl_b64 s[0:1], s[0:1], 2
	s_add_u32 s0, s18, s0
	s_addc_u32 s1, s19, s1
	v_add_co_u32 v24, vcc_lo, s0, v6
	v_add_co_ci_u32_e64 v25, null, s1, v7, vcc_lo
	v_add_co_u32 v24, vcc_lo, v24, v55
	v_add_co_ci_u32_e64 v25, null, 0, v25, vcc_lo
	global_load_dwordx4 v[26:29], v[24:25], off
	s_waitcnt vmcnt(0)
	ds_write_b128 v44, v[26:29]
	v_add_co_u32 v26, vcc_lo, s0, v8
	v_add_co_ci_u32_e64 v27, null, s1, v9, vcc_lo
	v_add_co_u32 v26, vcc_lo, v26, v55
	v_add_co_ci_u32_e64 v27, null, 0, v27, vcc_lo
	global_load_dwordx4 v[28:31], v[26:27], off
	s_waitcnt vmcnt(0)
	ds_write_b128 v45, v[28:31]
	v_add_co_u32 v28, vcc_lo, s0, v10
	v_add_co_ci_u32_e64 v29, null, s1, v11, vcc_lo
	v_add_co_u32 v28, vcc_lo, v28, v55
	v_add_co_ci_u32_e64 v29, null, 0, v29, vcc_lo
	;; [unrolled: 2-line block ×3, first 2 shown]
	global_load_dwordx4 v[82:85], v[28:29], off
	v_add_co_u32 v30, vcc_lo, v30, v55
	v_add_co_ci_u32_e64 v31, null, 0, v31, vcc_lo
	s_mul_hi_i32 s1, s9, s14
	s_mul_i32 s0, s9, s14
	s_lshl_b64 s[0:1], s[0:1], 2
	s_add_u32 s24, s12, s0
	s_addc_u32 s25, s13, s1
	s_waitcnt vmcnt(0)
	ds_write_b128 v46, v[82:85]
	global_load_dwordx4 v[82:85], v[30:31], off
	s_waitcnt vmcnt(0)
	ds_write_b128 v47, v[82:85]
	s_waitcnt lgkmcnt(0)
	s_barrier
	buffer_gl0_inv
	ds_read_b128 v[86:89], v49
	ds_read_b128 v[95:98], v33
	ds_read_b128 v[99:102], v33 offset:640
	ds_read_b128 v[90:93], v49 offset:4608
	;; [unrolled: 1-line block ×6, first 2 shown]
	v_mov_b32_e32 v82, 0
	v_mov_b32_e32 v83, 0
	;; [unrolled: 1-line block ×4, first 2 shown]
	s_waitcnt lgkmcnt(6)
	;;#ASMSTART
	v_dot2_f32_f16 v82, v86, v95, v82
	;;#ASMEND
	;;#ASMSTART
	v_dot2_f32_f16 v82, v87, v96, v82
	;;#ASMEND
	;;#ASMSTART
	v_dot2_f32_f16 v82, v88, v97, v82
	;;#ASMEND
	;;#ASMSTART
	v_dot2_f32_f16 v82, v89, v98, v82
	;;#ASMEND
	s_waitcnt lgkmcnt(5)
	;;#ASMSTART
	v_dot2_f32_f16 v83, v86, v99, v83
	;;#ASMEND
	;;#ASMSTART
	v_dot2_f32_f16 v83, v87, v100, v83
	;;#ASMEND
	;;#ASMSTART
	v_dot2_f32_f16 v83, v88, v101, v83
	;;#ASMEND
	;;#ASMSTART
	v_dot2_f32_f16 v83, v89, v102, v83
	;;#ASMEND
	;; [unrolled: 13-line block ×3, first 2 shown]
	s_waitcnt lgkmcnt(0)
	;;#ASMSTART
	v_dot2_f32_f16 v85, v86, v115, v85
	;;#ASMEND
	;;#ASMSTART
	v_dot2_f32_f16 v85, v87, v116, v85
	;;#ASMEND
	;;#ASMSTART
	v_dot2_f32_f16 v85, v88, v117, v85
	;;#ASMEND
	v_mov_b32_e32 v86, 0
	;;#ASMSTART
	v_dot2_f32_f16 v85, v89, v118, v85
	;;#ASMEND
	;;#ASMSTART
	v_dot2_f32_f16 v86, v90, v95, v86
	;;#ASMEND
	;;#ASMSTART
	v_dot2_f32_f16 v86, v91, v96, v86
	;;#ASMEND
	;;#ASMSTART
	v_dot2_f32_f16 v86, v92, v97, v86
	;;#ASMEND
	v_mov_b32_e32 v87, 0
	;;#ASMSTART
	v_dot2_f32_f16 v86, v93, v98, v86
	;;#ASMEND
	;; [unrolled: 13-line block ×8, first 2 shown]
	;;#ASMSTART
	v_dot2_f32_f16 v93, v103, v115, v93
	;;#ASMEND
	;;#ASMSTART
	v_dot2_f32_f16 v93, v104, v116, v93
	;;#ASMEND
	;; [unrolled: 3-line block ×7, first 2 shown]
	v_mov_b32_e32 v95, 0
	;;#ASMSTART
	v_dot2_f32_f16 v94, v110, v98, v94
	;;#ASMEND
	;;#ASMSTART
	v_dot2_f32_f16 v95, v107, v99, v95
	;;#ASMEND
	;;#ASMSTART
	v_dot2_f32_f16 v95, v108, v100, v95
	;;#ASMEND
	;;#ASMSTART
	v_dot2_f32_f16 v95, v109, v101, v95
	;;#ASMEND
	v_mov_b32_e32 v96, 0
	;;#ASMSTART
	v_dot2_f32_f16 v95, v110, v102, v95
	;;#ASMEND
	;;#ASMSTART
	v_dot2_f32_f16 v96, v107, v111, v96
	;;#ASMEND
	;;#ASMSTART
	v_dot2_f32_f16 v96, v108, v112, v96
	;;#ASMEND
	;;#ASMSTART
	v_dot2_f32_f16 v96, v109, v113, v96
	;;#ASMEND
	v_mov_b32_e32 v97, 0
	;;#ASMSTART
	v_dot2_f32_f16 v96, v110, v114, v96
	;;#ASMEND
	;;#ASMSTART
	v_dot2_f32_f16 v97, v107, v115, v97
	;;#ASMEND
	;;#ASMSTART
	v_dot2_f32_f16 v97, v108, v116, v97
	;;#ASMEND
	;;#ASMSTART
	v_dot2_f32_f16 v97, v109, v117, v97
	;;#ASMEND
	;;#ASMSTART
	v_dot2_f32_f16 v97, v110, v118, v97
	;;#ASMEND
	ds_read_b128 v[98:101], v49 offset:16
	ds_read_b128 v[102:105], v33 offset:16
	;; [unrolled: 1-line block ×8, first 2 shown]
	s_waitcnt lgkmcnt(6)
	;;#ASMSTART
	v_dot2_f32_f16 v82, v98, v102, v82
	;;#ASMEND
	;;#ASMSTART
	v_dot2_f32_f16 v82, v99, v103, v82
	;;#ASMEND
	;;#ASMSTART
	v_dot2_f32_f16 v82, v100, v104, v82
	;;#ASMEND
	;;#ASMSTART
	v_dot2_f32_f16 v82, v101, v105, v82
	;;#ASMEND
	s_waitcnt lgkmcnt(5)
	;;#ASMSTART
	v_dot2_f32_f16 v83, v98, v106, v83
	;;#ASMEND
	;;#ASMSTART
	v_dot2_f32_f16 v83, v99, v107, v83
	;;#ASMEND
	;;#ASMSTART
	v_dot2_f32_f16 v83, v100, v108, v83
	;;#ASMEND
	;;#ASMSTART
	v_dot2_f32_f16 v83, v101, v109, v83
	;;#ASMEND
	;; [unrolled: 13-line block ×5, first 2 shown]
	;;#ASMSTART
	v_dot2_f32_f16 v87, v118, v106, v87
	;;#ASMEND
	;;#ASMSTART
	v_dot2_f32_f16 v87, v119, v107, v87
	;;#ASMEND
	;; [unrolled: 3-line block ×12, first 2 shown]
	s_waitcnt lgkmcnt(1)
	;;#ASMSTART
	v_dot2_f32_f16 v90, v122, v102, v90
	;;#ASMEND
	;;#ASMSTART
	v_dot2_f32_f16 v90, v123, v103, v90
	;;#ASMEND
	;; [unrolled: 3-line block ×16, first 2 shown]
	s_waitcnt lgkmcnt(0)
	;;#ASMSTART
	v_dot2_f32_f16 v94, v126, v102, v94
	;;#ASMEND
	;;#ASMSTART
	v_dot2_f32_f16 v94, v127, v103, v94
	;;#ASMEND
	;;#ASMSTART
	v_dot2_f32_f16 v94, v128, v104, v94
	;;#ASMEND
	;;#ASMSTART
	v_dot2_f32_f16 v94, v129, v105, v94
	;;#ASMEND
	;;#ASMSTART
	v_dot2_f32_f16 v95, v126, v106, v95
	;;#ASMEND
	;;#ASMSTART
	v_dot2_f32_f16 v95, v127, v107, v95
	;;#ASMEND
	;;#ASMSTART
	v_dot2_f32_f16 v95, v128, v108, v95
	;;#ASMEND
	;;#ASMSTART
	v_dot2_f32_f16 v95, v129, v109, v95
	;;#ASMEND
	;;#ASMSTART
	v_dot2_f32_f16 v96, v126, v110, v96
	;;#ASMEND
	;;#ASMSTART
	v_dot2_f32_f16 v96, v127, v111, v96
	;;#ASMEND
	;;#ASMSTART
	v_dot2_f32_f16 v96, v128, v112, v96
	;;#ASMEND
	;;#ASMSTART
	v_dot2_f32_f16 v96, v129, v113, v96
	;;#ASMEND
	;;#ASMSTART
	v_dot2_f32_f16 v97, v126, v114, v97
	;;#ASMEND
	;;#ASMSTART
	v_dot2_f32_f16 v97, v127, v115, v97
	;;#ASMEND
	;;#ASMSTART
	v_dot2_f32_f16 v97, v128, v116, v97
	;;#ASMEND
	;;#ASMSTART
	v_dot2_f32_f16 v97, v129, v117, v97
	;;#ASMEND
	ds_read_b128 v[98:101], v49 offset:32
	ds_read_b128 v[102:105], v33 offset:32
	;; [unrolled: 1-line block ×8, first 2 shown]
	s_waitcnt lgkmcnt(6)
	;;#ASMSTART
	v_dot2_f32_f16 v82, v98, v102, v82
	;;#ASMEND
	;;#ASMSTART
	v_dot2_f32_f16 v82, v99, v103, v82
	;;#ASMEND
	;;#ASMSTART
	v_dot2_f32_f16 v82, v100, v104, v82
	;;#ASMEND
	;;#ASMSTART
	v_dot2_f32_f16 v82, v101, v105, v82
	;;#ASMEND
	s_waitcnt lgkmcnt(5)
	;;#ASMSTART
	v_dot2_f32_f16 v83, v98, v106, v83
	;;#ASMEND
	;;#ASMSTART
	v_dot2_f32_f16 v83, v99, v107, v83
	;;#ASMEND
	;;#ASMSTART
	v_dot2_f32_f16 v83, v100, v108, v83
	;;#ASMEND
	;;#ASMSTART
	v_dot2_f32_f16 v83, v101, v109, v83
	;;#ASMEND
	;; [unrolled: 13-line block ×5, first 2 shown]
	;;#ASMSTART
	v_dot2_f32_f16 v87, v118, v106, v87
	;;#ASMEND
	;;#ASMSTART
	v_dot2_f32_f16 v87, v119, v107, v87
	;;#ASMEND
	;;#ASMSTART
	v_dot2_f32_f16 v87, v120, v108, v87
	;;#ASMEND
	;;#ASMSTART
	v_dot2_f32_f16 v87, v121, v109, v87
	;;#ASMEND
	;;#ASMSTART
	v_dot2_f32_f16 v88, v118, v110, v88
	;;#ASMEND
	;;#ASMSTART
	v_dot2_f32_f16 v88, v119, v111, v88
	;;#ASMEND
	;;#ASMSTART
	v_dot2_f32_f16 v88, v120, v112, v88
	;;#ASMEND
	;;#ASMSTART
	v_dot2_f32_f16 v88, v121, v113, v88
	;;#ASMEND
	;;#ASMSTART
	v_dot2_f32_f16 v89, v118, v114, v89
	;;#ASMEND
	;;#ASMSTART
	v_dot2_f32_f16 v89, v119, v115, v89
	;;#ASMEND
	;;#ASMSTART
	v_dot2_f32_f16 v89, v120, v116, v89
	;;#ASMEND
	;;#ASMSTART
	v_dot2_f32_f16 v89, v121, v117, v89
	;;#ASMEND
	s_waitcnt lgkmcnt(1)
	;;#ASMSTART
	v_dot2_f32_f16 v90, v122, v102, v90
	;;#ASMEND
	;;#ASMSTART
	v_dot2_f32_f16 v90, v123, v103, v90
	;;#ASMEND
	;; [unrolled: 3-line block ×16, first 2 shown]
	s_waitcnt lgkmcnt(0)
	;;#ASMSTART
	v_dot2_f32_f16 v94, v126, v102, v94
	;;#ASMEND
	;;#ASMSTART
	v_dot2_f32_f16 v94, v127, v103, v94
	;;#ASMEND
	;; [unrolled: 3-line block ×16, first 2 shown]
	ds_read_b128 v[98:101], v49 offset:48
	ds_read_b128 v[102:105], v33 offset:48
	;; [unrolled: 1-line block ×8, first 2 shown]
	s_waitcnt lgkmcnt(6)
	;;#ASMSTART
	v_dot2_f32_f16 v82, v98, v102, v82
	;;#ASMEND
	;;#ASMSTART
	v_dot2_f32_f16 v82, v99, v103, v82
	;;#ASMEND
	;;#ASMSTART
	v_dot2_f32_f16 v82, v100, v104, v82
	;;#ASMEND
	;;#ASMSTART
	v_dot2_f32_f16 v82, v101, v105, v82
	;;#ASMEND
	s_waitcnt lgkmcnt(5)
	;;#ASMSTART
	v_dot2_f32_f16 v83, v98, v106, v83
	;;#ASMEND
	;;#ASMSTART
	v_dot2_f32_f16 v83, v99, v107, v83
	;;#ASMEND
	;;#ASMSTART
	v_dot2_f32_f16 v83, v100, v108, v83
	;;#ASMEND
	;;#ASMSTART
	v_dot2_f32_f16 v83, v101, v109, v83
	;;#ASMEND
	;; [unrolled: 13-line block ×5, first 2 shown]
	;;#ASMSTART
	v_dot2_f32_f16 v87, v118, v106, v87
	;;#ASMEND
	;;#ASMSTART
	v_dot2_f32_f16 v87, v119, v107, v87
	;;#ASMEND
	;; [unrolled: 3-line block ×12, first 2 shown]
	s_waitcnt lgkmcnt(1)
	;;#ASMSTART
	v_dot2_f32_f16 v90, v122, v102, v90
	;;#ASMEND
	;;#ASMSTART
	v_dot2_f32_f16 v90, v123, v103, v90
	;;#ASMEND
	;;#ASMSTART
	v_dot2_f32_f16 v90, v124, v104, v90
	;;#ASMEND
	;;#ASMSTART
	v_dot2_f32_f16 v90, v125, v105, v90
	;;#ASMEND
	;;#ASMSTART
	v_dot2_f32_f16 v91, v122, v106, v91
	;;#ASMEND
	;;#ASMSTART
	v_dot2_f32_f16 v91, v123, v107, v91
	;;#ASMEND
	;;#ASMSTART
	v_dot2_f32_f16 v91, v124, v108, v91
	;;#ASMEND
	;;#ASMSTART
	v_dot2_f32_f16 v91, v125, v109, v91
	;;#ASMEND
	;;#ASMSTART
	v_dot2_f32_f16 v92, v122, v110, v92
	;;#ASMEND
	;;#ASMSTART
	v_dot2_f32_f16 v92, v123, v111, v92
	;;#ASMEND
	;;#ASMSTART
	v_dot2_f32_f16 v92, v124, v112, v92
	;;#ASMEND
	;;#ASMSTART
	v_dot2_f32_f16 v92, v125, v113, v92
	;;#ASMEND
	;;#ASMSTART
	v_dot2_f32_f16 v93, v122, v114, v93
	;;#ASMEND
	;;#ASMSTART
	v_dot2_f32_f16 v93, v123, v115, v93
	;;#ASMEND
	;;#ASMSTART
	v_dot2_f32_f16 v93, v124, v116, v93
	;;#ASMEND
	;;#ASMSTART
	v_dot2_f32_f16 v93, v125, v117, v93
	;;#ASMEND
	s_waitcnt lgkmcnt(0)
	;;#ASMSTART
	v_dot2_f32_f16 v94, v126, v102, v94
	;;#ASMEND
	;;#ASMSTART
	v_dot2_f32_f16 v94, v127, v103, v94
	;;#ASMEND
	;; [unrolled: 3-line block ×16, first 2 shown]
	ds_read_b128 v[98:101], v49 offset:64
	ds_read_b128 v[102:105], v33 offset:64
	;; [unrolled: 1-line block ×8, first 2 shown]
	s_waitcnt lgkmcnt(6)
	;;#ASMSTART
	v_dot2_f32_f16 v82, v98, v102, v82
	;;#ASMEND
	;;#ASMSTART
	v_dot2_f32_f16 v82, v99, v103, v82
	;;#ASMEND
	;;#ASMSTART
	v_dot2_f32_f16 v82, v100, v104, v82
	;;#ASMEND
	;;#ASMSTART
	v_dot2_f32_f16 v82, v101, v105, v82
	;;#ASMEND
	s_waitcnt lgkmcnt(5)
	;;#ASMSTART
	v_dot2_f32_f16 v83, v98, v106, v83
	;;#ASMEND
	;;#ASMSTART
	v_dot2_f32_f16 v83, v99, v107, v83
	;;#ASMEND
	;;#ASMSTART
	v_dot2_f32_f16 v83, v100, v108, v83
	;;#ASMEND
	;;#ASMSTART
	v_dot2_f32_f16 v83, v101, v109, v83
	;;#ASMEND
	;; [unrolled: 13-line block ×5, first 2 shown]
	;;#ASMSTART
	v_dot2_f32_f16 v87, v118, v106, v87
	;;#ASMEND
	;;#ASMSTART
	v_dot2_f32_f16 v87, v119, v107, v87
	;;#ASMEND
	;; [unrolled: 3-line block ×12, first 2 shown]
	s_waitcnt lgkmcnt(1)
	;;#ASMSTART
	v_dot2_f32_f16 v90, v122, v102, v90
	;;#ASMEND
	;;#ASMSTART
	v_dot2_f32_f16 v90, v123, v103, v90
	;;#ASMEND
	;; [unrolled: 3-line block ×16, first 2 shown]
	s_waitcnt lgkmcnt(0)
	;;#ASMSTART
	v_dot2_f32_f16 v94, v126, v102, v94
	;;#ASMEND
	;;#ASMSTART
	v_dot2_f32_f16 v94, v127, v103, v94
	;;#ASMEND
	;; [unrolled: 3-line block ×16, first 2 shown]
	ds_read_b128 v[98:101], v49 offset:80
	ds_read_b128 v[102:105], v33 offset:80
	;; [unrolled: 1-line block ×8, first 2 shown]
	s_waitcnt lgkmcnt(6)
	;;#ASMSTART
	v_dot2_f32_f16 v82, v98, v102, v82
	;;#ASMEND
	;;#ASMSTART
	v_dot2_f32_f16 v82, v99, v103, v82
	;;#ASMEND
	;;#ASMSTART
	v_dot2_f32_f16 v82, v100, v104, v82
	;;#ASMEND
	;;#ASMSTART
	v_dot2_f32_f16 v82, v101, v105, v82
	;;#ASMEND
	s_waitcnt lgkmcnt(5)
	;;#ASMSTART
	v_dot2_f32_f16 v83, v98, v106, v83
	;;#ASMEND
	;;#ASMSTART
	v_dot2_f32_f16 v83, v99, v107, v83
	;;#ASMEND
	;;#ASMSTART
	v_dot2_f32_f16 v83, v100, v108, v83
	;;#ASMEND
	;;#ASMSTART
	v_dot2_f32_f16 v83, v101, v109, v83
	;;#ASMEND
	;; [unrolled: 13-line block ×5, first 2 shown]
	;;#ASMSTART
	v_dot2_f32_f16 v87, v118, v106, v87
	;;#ASMEND
	;;#ASMSTART
	v_dot2_f32_f16 v87, v119, v107, v87
	;;#ASMEND
	;; [unrolled: 3-line block ×12, first 2 shown]
	s_waitcnt lgkmcnt(1)
	;;#ASMSTART
	v_dot2_f32_f16 v90, v122, v102, v90
	;;#ASMEND
	;;#ASMSTART
	v_dot2_f32_f16 v90, v123, v103, v90
	;;#ASMEND
	;; [unrolled: 3-line block ×16, first 2 shown]
	s_waitcnt lgkmcnt(0)
	;;#ASMSTART
	v_dot2_f32_f16 v94, v126, v102, v94
	;;#ASMEND
	;;#ASMSTART
	v_dot2_f32_f16 v94, v127, v103, v94
	;;#ASMEND
	;; [unrolled: 3-line block ×16, first 2 shown]
	ds_read_b128 v[98:101], v49 offset:96
	ds_read_b128 v[102:105], v33 offset:96
	;; [unrolled: 1-line block ×8, first 2 shown]
	s_waitcnt lgkmcnt(6)
	;;#ASMSTART
	v_dot2_f32_f16 v82, v98, v102, v82
	;;#ASMEND
	;;#ASMSTART
	v_dot2_f32_f16 v82, v99, v103, v82
	;;#ASMEND
	;;#ASMSTART
	v_dot2_f32_f16 v82, v100, v104, v82
	;;#ASMEND
	;;#ASMSTART
	v_dot2_f32_f16 v82, v101, v105, v82
	;;#ASMEND
	s_waitcnt lgkmcnt(5)
	;;#ASMSTART
	v_dot2_f32_f16 v83, v98, v106, v83
	;;#ASMEND
	;;#ASMSTART
	v_dot2_f32_f16 v83, v99, v107, v83
	;;#ASMEND
	;;#ASMSTART
	v_dot2_f32_f16 v83, v100, v108, v83
	;;#ASMEND
	;;#ASMSTART
	v_dot2_f32_f16 v83, v101, v109, v83
	;;#ASMEND
	;; [unrolled: 13-line block ×5, first 2 shown]
	;;#ASMSTART
	v_dot2_f32_f16 v87, v118, v106, v87
	;;#ASMEND
	;;#ASMSTART
	v_dot2_f32_f16 v87, v119, v107, v87
	;;#ASMEND
	;; [unrolled: 3-line block ×12, first 2 shown]
	s_waitcnt lgkmcnt(1)
	;;#ASMSTART
	v_dot2_f32_f16 v90, v122, v102, v90
	;;#ASMEND
	;;#ASMSTART
	v_dot2_f32_f16 v90, v123, v103, v90
	;;#ASMEND
	;; [unrolled: 3-line block ×16, first 2 shown]
	s_waitcnt lgkmcnt(0)
	;;#ASMSTART
	v_dot2_f32_f16 v94, v126, v102, v94
	;;#ASMEND
	;;#ASMSTART
	v_dot2_f32_f16 v94, v127, v103, v94
	;;#ASMEND
	;; [unrolled: 3-line block ×16, first 2 shown]
	ds_read_b128 v[98:101], v49 offset:112
	ds_read_b128 v[102:105], v33 offset:112
	;; [unrolled: 1-line block ×8, first 2 shown]
	s_waitcnt lgkmcnt(6)
	;;#ASMSTART
	v_dot2_f32_f16 v82, v98, v102, v82
	;;#ASMEND
	;;#ASMSTART
	v_dot2_f32_f16 v82, v99, v103, v82
	;;#ASMEND
	;;#ASMSTART
	v_dot2_f32_f16 v82, v100, v104, v82
	;;#ASMEND
	;;#ASMSTART
	v_dot2_f32_f16 v82, v101, v105, v82
	;;#ASMEND
	s_waitcnt lgkmcnt(5)
	;;#ASMSTART
	v_dot2_f32_f16 v83, v98, v106, v83
	;;#ASMEND
	;;#ASMSTART
	v_dot2_f32_f16 v83, v99, v107, v83
	;;#ASMEND
	;;#ASMSTART
	v_dot2_f32_f16 v83, v100, v108, v83
	;;#ASMEND
	;;#ASMSTART
	v_dot2_f32_f16 v83, v101, v109, v83
	;;#ASMEND
	;; [unrolled: 13-line block ×5, first 2 shown]
	;;#ASMSTART
	v_dot2_f32_f16 v87, v118, v106, v87
	;;#ASMEND
	;;#ASMSTART
	v_dot2_f32_f16 v87, v119, v107, v87
	;;#ASMEND
	;;#ASMSTART
	v_dot2_f32_f16 v87, v120, v108, v87
	;;#ASMEND
	;;#ASMSTART
	v_dot2_f32_f16 v87, v121, v109, v87
	;;#ASMEND
	;;#ASMSTART
	v_dot2_f32_f16 v88, v118, v110, v88
	;;#ASMEND
	;;#ASMSTART
	v_dot2_f32_f16 v88, v119, v111, v88
	;;#ASMEND
	;;#ASMSTART
	v_dot2_f32_f16 v88, v120, v112, v88
	;;#ASMEND
	;;#ASMSTART
	v_dot2_f32_f16 v88, v121, v113, v88
	;;#ASMEND
	;;#ASMSTART
	v_dot2_f32_f16 v89, v118, v114, v89
	;;#ASMEND
	;;#ASMSTART
	v_dot2_f32_f16 v89, v119, v115, v89
	;;#ASMEND
	;;#ASMSTART
	v_dot2_f32_f16 v89, v120, v116, v89
	;;#ASMEND
	;;#ASMSTART
	v_dot2_f32_f16 v89, v121, v117, v89
	;;#ASMEND
	s_waitcnt lgkmcnt(1)
	;;#ASMSTART
	v_dot2_f32_f16 v90, v122, v102, v90
	;;#ASMEND
	;;#ASMSTART
	v_dot2_f32_f16 v90, v123, v103, v90
	;;#ASMEND
	;; [unrolled: 3-line block ×16, first 2 shown]
	s_waitcnt lgkmcnt(0)
	;;#ASMSTART
	v_dot2_f32_f16 v94, v126, v102, v94
	;;#ASMEND
	;;#ASMSTART
	v_dot2_f32_f16 v94, v127, v103, v94
	;;#ASMEND
	;; [unrolled: 3-line block ×16, first 2 shown]
	s_barrier
	buffer_gl0_inv
	global_load_dwordx4 v[98:101], v[24:25], off offset:128
	s_waitcnt vmcnt(0)
	ds_write_b128 v44, v[98:101]
	global_load_dwordx4 v[98:101], v[26:27], off offset:128
	s_waitcnt vmcnt(0)
	ds_write_b128 v45, v[98:101]
	;; [unrolled: 3-line block ×4, first 2 shown]
	s_waitcnt lgkmcnt(0)
	s_barrier
	buffer_gl0_inv
	ds_read_b128 v[98:101], v49
	ds_read_b128 v[102:105], v33 offset:128
	ds_read_b128 v[106:109], v33 offset:768
	;; [unrolled: 1-line block ×7, first 2 shown]
	s_waitcnt lgkmcnt(6)
	;;#ASMSTART
	v_dot2_f32_f16 v82, v98, v102, v82
	;;#ASMEND
	;;#ASMSTART
	v_dot2_f32_f16 v82, v99, v103, v82
	;;#ASMEND
	;;#ASMSTART
	v_dot2_f32_f16 v82, v100, v104, v82
	;;#ASMEND
	;;#ASMSTART
	v_dot2_f32_f16 v82, v101, v105, v82
	;;#ASMEND
	s_waitcnt lgkmcnt(5)
	;;#ASMSTART
	v_dot2_f32_f16 v83, v98, v106, v83
	;;#ASMEND
	;;#ASMSTART
	v_dot2_f32_f16 v83, v99, v107, v83
	;;#ASMEND
	;;#ASMSTART
	v_dot2_f32_f16 v83, v100, v108, v83
	;;#ASMEND
	;;#ASMSTART
	v_dot2_f32_f16 v83, v101, v109, v83
	;;#ASMEND
	;; [unrolled: 13-line block ×5, first 2 shown]
	;;#ASMSTART
	v_dot2_f32_f16 v87, v118, v106, v87
	;;#ASMEND
	;;#ASMSTART
	v_dot2_f32_f16 v87, v119, v107, v87
	;;#ASMEND
	;; [unrolled: 3-line block ×12, first 2 shown]
	s_waitcnt lgkmcnt(1)
	;;#ASMSTART
	v_dot2_f32_f16 v90, v122, v102, v90
	;;#ASMEND
	;;#ASMSTART
	v_dot2_f32_f16 v90, v123, v103, v90
	;;#ASMEND
	;; [unrolled: 3-line block ×16, first 2 shown]
	s_waitcnt lgkmcnt(0)
	;;#ASMSTART
	v_dot2_f32_f16 v94, v126, v102, v94
	;;#ASMEND
	;;#ASMSTART
	v_dot2_f32_f16 v94, v127, v103, v94
	;;#ASMEND
	;; [unrolled: 3-line block ×16, first 2 shown]
	ds_read_b128 v[98:101], v49 offset:16
	ds_read_b128 v[102:105], v33 offset:144
	;; [unrolled: 1-line block ×8, first 2 shown]
	s_waitcnt lgkmcnt(6)
	;;#ASMSTART
	v_dot2_f32_f16 v82, v98, v102, v82
	;;#ASMEND
	;;#ASMSTART
	v_dot2_f32_f16 v82, v99, v103, v82
	;;#ASMEND
	;;#ASMSTART
	v_dot2_f32_f16 v82, v100, v104, v82
	;;#ASMEND
	;;#ASMSTART
	v_dot2_f32_f16 v82, v101, v105, v82
	;;#ASMEND
	s_waitcnt lgkmcnt(5)
	;;#ASMSTART
	v_dot2_f32_f16 v83, v98, v106, v83
	;;#ASMEND
	;;#ASMSTART
	v_dot2_f32_f16 v83, v99, v107, v83
	;;#ASMEND
	;;#ASMSTART
	v_dot2_f32_f16 v83, v100, v108, v83
	;;#ASMEND
	;;#ASMSTART
	v_dot2_f32_f16 v83, v101, v109, v83
	;;#ASMEND
	;; [unrolled: 13-line block ×5, first 2 shown]
	;;#ASMSTART
	v_dot2_f32_f16 v87, v118, v106, v87
	;;#ASMEND
	;;#ASMSTART
	v_dot2_f32_f16 v87, v119, v107, v87
	;;#ASMEND
	;; [unrolled: 3-line block ×12, first 2 shown]
	s_waitcnt lgkmcnt(1)
	;;#ASMSTART
	v_dot2_f32_f16 v90, v122, v102, v90
	;;#ASMEND
	;;#ASMSTART
	v_dot2_f32_f16 v90, v123, v103, v90
	;;#ASMEND
	;; [unrolled: 3-line block ×16, first 2 shown]
	s_waitcnt lgkmcnt(0)
	;;#ASMSTART
	v_dot2_f32_f16 v94, v126, v102, v94
	;;#ASMEND
	;;#ASMSTART
	v_dot2_f32_f16 v94, v127, v103, v94
	;;#ASMEND
	;; [unrolled: 3-line block ×16, first 2 shown]
	ds_read_b128 v[98:101], v49 offset:32
	ds_read_b128 v[102:105], v33 offset:160
	;; [unrolled: 1-line block ×8, first 2 shown]
	s_waitcnt lgkmcnt(6)
	;;#ASMSTART
	v_dot2_f32_f16 v82, v98, v102, v82
	;;#ASMEND
	;;#ASMSTART
	v_dot2_f32_f16 v82, v99, v103, v82
	;;#ASMEND
	;;#ASMSTART
	v_dot2_f32_f16 v82, v100, v104, v82
	;;#ASMEND
	;;#ASMSTART
	v_dot2_f32_f16 v82, v101, v105, v82
	;;#ASMEND
	s_waitcnt lgkmcnt(5)
	;;#ASMSTART
	v_dot2_f32_f16 v83, v98, v106, v83
	;;#ASMEND
	;;#ASMSTART
	v_dot2_f32_f16 v83, v99, v107, v83
	;;#ASMEND
	;;#ASMSTART
	v_dot2_f32_f16 v83, v100, v108, v83
	;;#ASMEND
	;;#ASMSTART
	v_dot2_f32_f16 v83, v101, v109, v83
	;;#ASMEND
	;; [unrolled: 13-line block ×5, first 2 shown]
	;;#ASMSTART
	v_dot2_f32_f16 v87, v118, v106, v87
	;;#ASMEND
	;;#ASMSTART
	v_dot2_f32_f16 v87, v119, v107, v87
	;;#ASMEND
	;; [unrolled: 3-line block ×12, first 2 shown]
	s_waitcnt lgkmcnt(1)
	;;#ASMSTART
	v_dot2_f32_f16 v90, v122, v102, v90
	;;#ASMEND
	;;#ASMSTART
	v_dot2_f32_f16 v90, v123, v103, v90
	;;#ASMEND
	;; [unrolled: 3-line block ×16, first 2 shown]
	s_waitcnt lgkmcnt(0)
	;;#ASMSTART
	v_dot2_f32_f16 v94, v126, v102, v94
	;;#ASMEND
	;;#ASMSTART
	v_dot2_f32_f16 v94, v127, v103, v94
	;;#ASMEND
	;; [unrolled: 3-line block ×16, first 2 shown]
	ds_read_b128 v[98:101], v49 offset:48
	ds_read_b128 v[102:105], v33 offset:176
	;; [unrolled: 1-line block ×8, first 2 shown]
	s_waitcnt lgkmcnt(6)
	;;#ASMSTART
	v_dot2_f32_f16 v82, v98, v102, v82
	;;#ASMEND
	;;#ASMSTART
	v_dot2_f32_f16 v82, v99, v103, v82
	;;#ASMEND
	;;#ASMSTART
	v_dot2_f32_f16 v82, v100, v104, v82
	;;#ASMEND
	;;#ASMSTART
	v_dot2_f32_f16 v82, v101, v105, v82
	;;#ASMEND
	s_waitcnt lgkmcnt(5)
	;;#ASMSTART
	v_dot2_f32_f16 v83, v98, v106, v83
	;;#ASMEND
	;;#ASMSTART
	v_dot2_f32_f16 v83, v99, v107, v83
	;;#ASMEND
	;;#ASMSTART
	v_dot2_f32_f16 v83, v100, v108, v83
	;;#ASMEND
	;;#ASMSTART
	v_dot2_f32_f16 v83, v101, v109, v83
	;;#ASMEND
	;; [unrolled: 13-line block ×5, first 2 shown]
	;;#ASMSTART
	v_dot2_f32_f16 v87, v118, v106, v87
	;;#ASMEND
	;;#ASMSTART
	v_dot2_f32_f16 v87, v119, v107, v87
	;;#ASMEND
	;; [unrolled: 3-line block ×12, first 2 shown]
	s_waitcnt lgkmcnt(1)
	;;#ASMSTART
	v_dot2_f32_f16 v90, v122, v102, v90
	;;#ASMEND
	;;#ASMSTART
	v_dot2_f32_f16 v90, v123, v103, v90
	;;#ASMEND
	;; [unrolled: 3-line block ×16, first 2 shown]
	s_waitcnt lgkmcnt(0)
	;;#ASMSTART
	v_dot2_f32_f16 v94, v126, v102, v94
	;;#ASMEND
	;;#ASMSTART
	v_dot2_f32_f16 v94, v127, v103, v94
	;;#ASMEND
	;;#ASMSTART
	v_dot2_f32_f16 v94, v128, v104, v94
	;;#ASMEND
	;;#ASMSTART
	v_dot2_f32_f16 v94, v129, v105, v94
	;;#ASMEND
	;;#ASMSTART
	v_dot2_f32_f16 v95, v126, v106, v95
	;;#ASMEND
	;;#ASMSTART
	v_dot2_f32_f16 v95, v127, v107, v95
	;;#ASMEND
	;;#ASMSTART
	v_dot2_f32_f16 v95, v128, v108, v95
	;;#ASMEND
	;;#ASMSTART
	v_dot2_f32_f16 v95, v129, v109, v95
	;;#ASMEND
	;;#ASMSTART
	v_dot2_f32_f16 v96, v126, v110, v96
	;;#ASMEND
	;;#ASMSTART
	v_dot2_f32_f16 v96, v127, v111, v96
	;;#ASMEND
	;;#ASMSTART
	v_dot2_f32_f16 v96, v128, v112, v96
	;;#ASMEND
	;;#ASMSTART
	v_dot2_f32_f16 v96, v129, v113, v96
	;;#ASMEND
	;;#ASMSTART
	v_dot2_f32_f16 v97, v126, v114, v97
	;;#ASMEND
	;;#ASMSTART
	v_dot2_f32_f16 v97, v127, v115, v97
	;;#ASMEND
	;;#ASMSTART
	v_dot2_f32_f16 v97, v128, v116, v97
	;;#ASMEND
	;;#ASMSTART
	v_dot2_f32_f16 v97, v129, v117, v97
	;;#ASMEND
	ds_read_b128 v[98:101], v49 offset:64
	ds_read_b128 v[102:105], v33 offset:192
	;; [unrolled: 1-line block ×8, first 2 shown]
	s_waitcnt lgkmcnt(6)
	;;#ASMSTART
	v_dot2_f32_f16 v82, v98, v102, v82
	;;#ASMEND
	;;#ASMSTART
	v_dot2_f32_f16 v82, v99, v103, v82
	;;#ASMEND
	;;#ASMSTART
	v_dot2_f32_f16 v82, v100, v104, v82
	;;#ASMEND
	;;#ASMSTART
	v_dot2_f32_f16 v82, v101, v105, v82
	;;#ASMEND
	s_waitcnt lgkmcnt(5)
	;;#ASMSTART
	v_dot2_f32_f16 v83, v98, v106, v83
	;;#ASMEND
	;;#ASMSTART
	v_dot2_f32_f16 v83, v99, v107, v83
	;;#ASMEND
	;;#ASMSTART
	v_dot2_f32_f16 v83, v100, v108, v83
	;;#ASMEND
	;;#ASMSTART
	v_dot2_f32_f16 v83, v101, v109, v83
	;;#ASMEND
	;; [unrolled: 13-line block ×5, first 2 shown]
	;;#ASMSTART
	v_dot2_f32_f16 v87, v118, v106, v87
	;;#ASMEND
	;;#ASMSTART
	v_dot2_f32_f16 v87, v119, v107, v87
	;;#ASMEND
	;; [unrolled: 3-line block ×12, first 2 shown]
	s_waitcnt lgkmcnt(1)
	;;#ASMSTART
	v_dot2_f32_f16 v90, v122, v102, v90
	;;#ASMEND
	;;#ASMSTART
	v_dot2_f32_f16 v90, v123, v103, v90
	;;#ASMEND
	;; [unrolled: 3-line block ×16, first 2 shown]
	s_waitcnt lgkmcnt(0)
	;;#ASMSTART
	v_dot2_f32_f16 v94, v126, v102, v94
	;;#ASMEND
	;;#ASMSTART
	v_dot2_f32_f16 v94, v127, v103, v94
	;;#ASMEND
	;; [unrolled: 3-line block ×16, first 2 shown]
	ds_read_b128 v[98:101], v49 offset:80
	ds_read_b128 v[102:105], v33 offset:208
	;; [unrolled: 1-line block ×8, first 2 shown]
	s_waitcnt lgkmcnt(6)
	;;#ASMSTART
	v_dot2_f32_f16 v82, v98, v102, v82
	;;#ASMEND
	;;#ASMSTART
	v_dot2_f32_f16 v82, v99, v103, v82
	;;#ASMEND
	;;#ASMSTART
	v_dot2_f32_f16 v82, v100, v104, v82
	;;#ASMEND
	;;#ASMSTART
	v_dot2_f32_f16 v82, v101, v105, v82
	;;#ASMEND
	s_waitcnt lgkmcnt(5)
	;;#ASMSTART
	v_dot2_f32_f16 v83, v98, v106, v83
	;;#ASMEND
	;;#ASMSTART
	v_dot2_f32_f16 v83, v99, v107, v83
	;;#ASMEND
	;;#ASMSTART
	v_dot2_f32_f16 v83, v100, v108, v83
	;;#ASMEND
	;;#ASMSTART
	v_dot2_f32_f16 v83, v101, v109, v83
	;;#ASMEND
	;; [unrolled: 13-line block ×5, first 2 shown]
	;;#ASMSTART
	v_dot2_f32_f16 v87, v118, v106, v87
	;;#ASMEND
	;;#ASMSTART
	v_dot2_f32_f16 v87, v119, v107, v87
	;;#ASMEND
	;; [unrolled: 3-line block ×12, first 2 shown]
	s_waitcnt lgkmcnt(1)
	;;#ASMSTART
	v_dot2_f32_f16 v90, v122, v102, v90
	;;#ASMEND
	;;#ASMSTART
	v_dot2_f32_f16 v90, v123, v103, v90
	;;#ASMEND
	;; [unrolled: 3-line block ×16, first 2 shown]
	s_waitcnt lgkmcnt(0)
	;;#ASMSTART
	v_dot2_f32_f16 v94, v126, v102, v94
	;;#ASMEND
	;;#ASMSTART
	v_dot2_f32_f16 v94, v127, v103, v94
	;;#ASMEND
	;; [unrolled: 3-line block ×16, first 2 shown]
	ds_read_b128 v[98:101], v49 offset:96
	ds_read_b128 v[102:105], v33 offset:224
	;; [unrolled: 1-line block ×8, first 2 shown]
	s_waitcnt lgkmcnt(6)
	;;#ASMSTART
	v_dot2_f32_f16 v82, v98, v102, v82
	;;#ASMEND
	;;#ASMSTART
	v_dot2_f32_f16 v82, v99, v103, v82
	;;#ASMEND
	;;#ASMSTART
	v_dot2_f32_f16 v82, v100, v104, v82
	;;#ASMEND
	;;#ASMSTART
	v_dot2_f32_f16 v82, v101, v105, v82
	;;#ASMEND
	s_waitcnt lgkmcnt(5)
	;;#ASMSTART
	v_dot2_f32_f16 v83, v98, v106, v83
	;;#ASMEND
	;;#ASMSTART
	v_dot2_f32_f16 v83, v99, v107, v83
	;;#ASMEND
	;;#ASMSTART
	v_dot2_f32_f16 v83, v100, v108, v83
	;;#ASMEND
	;;#ASMSTART
	v_dot2_f32_f16 v83, v101, v109, v83
	;;#ASMEND
	;; [unrolled: 13-line block ×5, first 2 shown]
	;;#ASMSTART
	v_dot2_f32_f16 v87, v118, v106, v87
	;;#ASMEND
	;;#ASMSTART
	v_dot2_f32_f16 v87, v119, v107, v87
	;;#ASMEND
	;; [unrolled: 3-line block ×12, first 2 shown]
	s_waitcnt lgkmcnt(1)
	;;#ASMSTART
	v_dot2_f32_f16 v90, v122, v102, v90
	;;#ASMEND
	;;#ASMSTART
	v_dot2_f32_f16 v90, v123, v103, v90
	;;#ASMEND
	;; [unrolled: 3-line block ×16, first 2 shown]
	s_waitcnt lgkmcnt(0)
	;;#ASMSTART
	v_dot2_f32_f16 v94, v126, v102, v94
	;;#ASMEND
	;;#ASMSTART
	v_dot2_f32_f16 v94, v127, v103, v94
	;;#ASMEND
	;;#ASMSTART
	v_dot2_f32_f16 v94, v128, v104, v94
	;;#ASMEND
	;;#ASMSTART
	v_dot2_f32_f16 v94, v129, v105, v94
	;;#ASMEND
	;;#ASMSTART
	v_dot2_f32_f16 v95, v126, v106, v95
	;;#ASMEND
	;;#ASMSTART
	v_dot2_f32_f16 v95, v127, v107, v95
	;;#ASMEND
	;;#ASMSTART
	v_dot2_f32_f16 v95, v128, v108, v95
	;;#ASMEND
	;;#ASMSTART
	v_dot2_f32_f16 v95, v129, v109, v95
	;;#ASMEND
	;;#ASMSTART
	v_dot2_f32_f16 v96, v126, v110, v96
	;;#ASMEND
	;;#ASMSTART
	v_dot2_f32_f16 v96, v127, v111, v96
	;;#ASMEND
	;;#ASMSTART
	v_dot2_f32_f16 v96, v128, v112, v96
	;;#ASMEND
	;;#ASMSTART
	v_dot2_f32_f16 v96, v129, v113, v96
	;;#ASMEND
	;;#ASMSTART
	v_dot2_f32_f16 v97, v126, v114, v97
	;;#ASMEND
	;;#ASMSTART
	v_dot2_f32_f16 v97, v127, v115, v97
	;;#ASMEND
	;;#ASMSTART
	v_dot2_f32_f16 v97, v128, v116, v97
	;;#ASMEND
	;;#ASMSTART
	v_dot2_f32_f16 v97, v129, v117, v97
	;;#ASMEND
	ds_read_b128 v[98:101], v49 offset:112
	ds_read_b128 v[102:105], v33 offset:240
	;; [unrolled: 1-line block ×8, first 2 shown]
	s_waitcnt lgkmcnt(6)
	;;#ASMSTART
	v_dot2_f32_f16 v82, v98, v102, v82
	;;#ASMEND
	;;#ASMSTART
	v_dot2_f32_f16 v82, v99, v103, v82
	;;#ASMEND
	;;#ASMSTART
	v_dot2_f32_f16 v82, v100, v104, v82
	;;#ASMEND
	;;#ASMSTART
	v_dot2_f32_f16 v82, v101, v105, v82
	;;#ASMEND
	s_waitcnt lgkmcnt(5)
	;;#ASMSTART
	v_dot2_f32_f16 v83, v98, v106, v83
	;;#ASMEND
	;;#ASMSTART
	v_dot2_f32_f16 v83, v99, v107, v83
	;;#ASMEND
	;;#ASMSTART
	v_dot2_f32_f16 v83, v100, v108, v83
	;;#ASMEND
	;;#ASMSTART
	v_dot2_f32_f16 v83, v101, v109, v83
	;;#ASMEND
	;; [unrolled: 13-line block ×5, first 2 shown]
	;;#ASMSTART
	v_dot2_f32_f16 v87, v118, v106, v87
	;;#ASMEND
	;;#ASMSTART
	v_dot2_f32_f16 v87, v119, v107, v87
	;;#ASMEND
	;;#ASMSTART
	v_dot2_f32_f16 v87, v120, v108, v87
	;;#ASMEND
	;;#ASMSTART
	v_dot2_f32_f16 v87, v121, v109, v87
	;;#ASMEND
	;;#ASMSTART
	v_dot2_f32_f16 v88, v118, v110, v88
	;;#ASMEND
	;;#ASMSTART
	v_dot2_f32_f16 v88, v119, v111, v88
	;;#ASMEND
	;;#ASMSTART
	v_dot2_f32_f16 v88, v120, v112, v88
	;;#ASMEND
	;;#ASMSTART
	v_dot2_f32_f16 v88, v121, v113, v88
	;;#ASMEND
	;;#ASMSTART
	v_dot2_f32_f16 v89, v118, v114, v89
	;;#ASMEND
	;;#ASMSTART
	v_dot2_f32_f16 v89, v119, v115, v89
	;;#ASMEND
	;;#ASMSTART
	v_dot2_f32_f16 v89, v120, v116, v89
	;;#ASMEND
	;;#ASMSTART
	v_dot2_f32_f16 v89, v121, v117, v89
	;;#ASMEND
	s_waitcnt lgkmcnt(1)
	;;#ASMSTART
	v_dot2_f32_f16 v90, v122, v102, v90
	;;#ASMEND
	;;#ASMSTART
	v_dot2_f32_f16 v90, v123, v103, v90
	;;#ASMEND
	;; [unrolled: 3-line block ×16, first 2 shown]
	s_waitcnt lgkmcnt(0)
	;;#ASMSTART
	v_dot2_f32_f16 v94, v126, v102, v94
	;;#ASMEND
	;;#ASMSTART
	v_dot2_f32_f16 v94, v127, v103, v94
	;;#ASMEND
	;; [unrolled: 3-line block ×16, first 2 shown]
	s_barrier
	buffer_gl0_inv
	global_load_dwordx4 v[98:101], v[24:25], off offset:256
	s_waitcnt vmcnt(0)
	ds_write_b128 v44, v[98:101]
	global_load_dwordx4 v[98:101], v[26:27], off offset:256
	s_waitcnt vmcnt(0)
	ds_write_b128 v45, v[98:101]
	;; [unrolled: 3-line block ×4, first 2 shown]
	s_waitcnt lgkmcnt(0)
	s_barrier
	buffer_gl0_inv
	ds_read_b128 v[98:101], v49
	ds_read_b128 v[102:105], v33 offset:256
	ds_read_b128 v[106:109], v33 offset:896
	;; [unrolled: 1-line block ×7, first 2 shown]
	s_waitcnt lgkmcnt(6)
	;;#ASMSTART
	v_dot2_f32_f16 v82, v98, v102, v82
	;;#ASMEND
	;;#ASMSTART
	v_dot2_f32_f16 v82, v99, v103, v82
	;;#ASMEND
	;;#ASMSTART
	v_dot2_f32_f16 v82, v100, v104, v82
	;;#ASMEND
	;;#ASMSTART
	v_dot2_f32_f16 v82, v101, v105, v82
	;;#ASMEND
	s_waitcnt lgkmcnt(5)
	;;#ASMSTART
	v_dot2_f32_f16 v83, v98, v106, v83
	;;#ASMEND
	;;#ASMSTART
	v_dot2_f32_f16 v83, v99, v107, v83
	;;#ASMEND
	;;#ASMSTART
	v_dot2_f32_f16 v83, v100, v108, v83
	;;#ASMEND
	;;#ASMSTART
	v_dot2_f32_f16 v83, v101, v109, v83
	;;#ASMEND
	;; [unrolled: 13-line block ×5, first 2 shown]
	;;#ASMSTART
	v_dot2_f32_f16 v87, v118, v106, v87
	;;#ASMEND
	;;#ASMSTART
	v_dot2_f32_f16 v87, v119, v107, v87
	;;#ASMEND
	;; [unrolled: 3-line block ×12, first 2 shown]
	s_waitcnt lgkmcnt(1)
	;;#ASMSTART
	v_dot2_f32_f16 v90, v122, v102, v90
	;;#ASMEND
	;;#ASMSTART
	v_dot2_f32_f16 v90, v123, v103, v90
	;;#ASMEND
	;; [unrolled: 3-line block ×16, first 2 shown]
	s_waitcnt lgkmcnt(0)
	;;#ASMSTART
	v_dot2_f32_f16 v94, v126, v102, v94
	;;#ASMEND
	;;#ASMSTART
	v_dot2_f32_f16 v94, v127, v103, v94
	;;#ASMEND
	;; [unrolled: 3-line block ×16, first 2 shown]
	ds_read_b128 v[98:101], v49 offset:16
	ds_read_b128 v[102:105], v33 offset:272
	ds_read_b128 v[106:109], v33 offset:912
	ds_read_b128 v[110:113], v33 offset:1552
	ds_read_b128 v[114:117], v33 offset:2192
	ds_read_b128 v[118:121], v49 offset:4624
	ds_read_b128 v[122:125], v49 offset:9232
	ds_read_b128 v[126:129], v49 offset:13840
	s_waitcnt lgkmcnt(6)
	;;#ASMSTART
	v_dot2_f32_f16 v82, v98, v102, v82
	;;#ASMEND
	;;#ASMSTART
	v_dot2_f32_f16 v82, v99, v103, v82
	;;#ASMEND
	;;#ASMSTART
	v_dot2_f32_f16 v82, v100, v104, v82
	;;#ASMEND
	;;#ASMSTART
	v_dot2_f32_f16 v82, v101, v105, v82
	;;#ASMEND
	s_waitcnt lgkmcnt(5)
	;;#ASMSTART
	v_dot2_f32_f16 v83, v98, v106, v83
	;;#ASMEND
	;;#ASMSTART
	v_dot2_f32_f16 v83, v99, v107, v83
	;;#ASMEND
	;;#ASMSTART
	v_dot2_f32_f16 v83, v100, v108, v83
	;;#ASMEND
	;;#ASMSTART
	v_dot2_f32_f16 v83, v101, v109, v83
	;;#ASMEND
	s_waitcnt lgkmcnt(4)
	;;#ASMSTART
	v_dot2_f32_f16 v84, v98, v110, v84
	;;#ASMEND
	;;#ASMSTART
	v_dot2_f32_f16 v84, v99, v111, v84
	;;#ASMEND
	;;#ASMSTART
	v_dot2_f32_f16 v84, v100, v112, v84
	;;#ASMEND
	;;#ASMSTART
	v_dot2_f32_f16 v84, v101, v113, v84
	;;#ASMEND
	s_waitcnt lgkmcnt(3)
	;;#ASMSTART
	v_dot2_f32_f16 v85, v98, v114, v85
	;;#ASMEND
	;;#ASMSTART
	v_dot2_f32_f16 v85, v99, v115, v85
	;;#ASMEND
	;;#ASMSTART
	v_dot2_f32_f16 v85, v100, v116, v85
	;;#ASMEND
	;;#ASMSTART
	v_dot2_f32_f16 v85, v101, v117, v85
	;;#ASMEND
	s_waitcnt lgkmcnt(2)
	;;#ASMSTART
	v_dot2_f32_f16 v86, v118, v102, v86
	;;#ASMEND
	;;#ASMSTART
	v_dot2_f32_f16 v86, v119, v103, v86
	;;#ASMEND
	;;#ASMSTART
	v_dot2_f32_f16 v86, v120, v104, v86
	;;#ASMEND
	;;#ASMSTART
	v_dot2_f32_f16 v86, v121, v105, v86
	;;#ASMEND
	;;#ASMSTART
	v_dot2_f32_f16 v87, v118, v106, v87
	;;#ASMEND
	;;#ASMSTART
	v_dot2_f32_f16 v87, v119, v107, v87
	;;#ASMEND
	;; [unrolled: 3-line block ×12, first 2 shown]
	s_waitcnt lgkmcnt(1)
	;;#ASMSTART
	v_dot2_f32_f16 v90, v122, v102, v90
	;;#ASMEND
	;;#ASMSTART
	v_dot2_f32_f16 v90, v123, v103, v90
	;;#ASMEND
	;; [unrolled: 3-line block ×16, first 2 shown]
	s_waitcnt lgkmcnt(0)
	;;#ASMSTART
	v_dot2_f32_f16 v94, v126, v102, v94
	;;#ASMEND
	;;#ASMSTART
	v_dot2_f32_f16 v94, v127, v103, v94
	;;#ASMEND
	;; [unrolled: 3-line block ×16, first 2 shown]
	ds_read_b128 v[98:101], v49 offset:32
	ds_read_b128 v[102:105], v33 offset:288
	;; [unrolled: 1-line block ×8, first 2 shown]
	s_waitcnt lgkmcnt(6)
	;;#ASMSTART
	v_dot2_f32_f16 v82, v98, v102, v82
	;;#ASMEND
	;;#ASMSTART
	v_dot2_f32_f16 v82, v99, v103, v82
	;;#ASMEND
	;;#ASMSTART
	v_dot2_f32_f16 v82, v100, v104, v82
	;;#ASMEND
	;;#ASMSTART
	v_dot2_f32_f16 v82, v101, v105, v82
	;;#ASMEND
	s_waitcnt lgkmcnt(5)
	;;#ASMSTART
	v_dot2_f32_f16 v83, v98, v106, v83
	;;#ASMEND
	;;#ASMSTART
	v_dot2_f32_f16 v83, v99, v107, v83
	;;#ASMEND
	;;#ASMSTART
	v_dot2_f32_f16 v83, v100, v108, v83
	;;#ASMEND
	;;#ASMSTART
	v_dot2_f32_f16 v83, v101, v109, v83
	;;#ASMEND
	;; [unrolled: 13-line block ×5, first 2 shown]
	;;#ASMSTART
	v_dot2_f32_f16 v87, v118, v106, v87
	;;#ASMEND
	;;#ASMSTART
	v_dot2_f32_f16 v87, v119, v107, v87
	;;#ASMEND
	;; [unrolled: 3-line block ×12, first 2 shown]
	s_waitcnt lgkmcnt(1)
	;;#ASMSTART
	v_dot2_f32_f16 v90, v122, v102, v90
	;;#ASMEND
	;;#ASMSTART
	v_dot2_f32_f16 v90, v123, v103, v90
	;;#ASMEND
	;;#ASMSTART
	v_dot2_f32_f16 v90, v124, v104, v90
	;;#ASMEND
	;;#ASMSTART
	v_dot2_f32_f16 v90, v125, v105, v90
	;;#ASMEND
	;;#ASMSTART
	v_dot2_f32_f16 v91, v122, v106, v91
	;;#ASMEND
	;;#ASMSTART
	v_dot2_f32_f16 v91, v123, v107, v91
	;;#ASMEND
	;;#ASMSTART
	v_dot2_f32_f16 v91, v124, v108, v91
	;;#ASMEND
	;;#ASMSTART
	v_dot2_f32_f16 v91, v125, v109, v91
	;;#ASMEND
	;;#ASMSTART
	v_dot2_f32_f16 v92, v122, v110, v92
	;;#ASMEND
	;;#ASMSTART
	v_dot2_f32_f16 v92, v123, v111, v92
	;;#ASMEND
	;;#ASMSTART
	v_dot2_f32_f16 v92, v124, v112, v92
	;;#ASMEND
	;;#ASMSTART
	v_dot2_f32_f16 v92, v125, v113, v92
	;;#ASMEND
	;;#ASMSTART
	v_dot2_f32_f16 v93, v122, v114, v93
	;;#ASMEND
	;;#ASMSTART
	v_dot2_f32_f16 v93, v123, v115, v93
	;;#ASMEND
	;;#ASMSTART
	v_dot2_f32_f16 v93, v124, v116, v93
	;;#ASMEND
	;;#ASMSTART
	v_dot2_f32_f16 v93, v125, v117, v93
	;;#ASMEND
	s_waitcnt lgkmcnt(0)
	;;#ASMSTART
	v_dot2_f32_f16 v94, v126, v102, v94
	;;#ASMEND
	;;#ASMSTART
	v_dot2_f32_f16 v94, v127, v103, v94
	;;#ASMEND
	;; [unrolled: 3-line block ×16, first 2 shown]
	ds_read_b128 v[98:101], v49 offset:48
	ds_read_b128 v[102:105], v33 offset:304
	ds_read_b128 v[106:109], v33 offset:944
	ds_read_b128 v[110:113], v33 offset:1584
	ds_read_b128 v[114:117], v33 offset:2224
	ds_read_b128 v[118:121], v49 offset:4656
	ds_read_b128 v[122:125], v49 offset:9264
	ds_read_b128 v[126:129], v49 offset:13872
	s_waitcnt lgkmcnt(6)
	;;#ASMSTART
	v_dot2_f32_f16 v82, v98, v102, v82
	;;#ASMEND
	;;#ASMSTART
	v_dot2_f32_f16 v82, v99, v103, v82
	;;#ASMEND
	;;#ASMSTART
	v_dot2_f32_f16 v82, v100, v104, v82
	;;#ASMEND
	;;#ASMSTART
	v_dot2_f32_f16 v82, v101, v105, v82
	;;#ASMEND
	s_waitcnt lgkmcnt(5)
	;;#ASMSTART
	v_dot2_f32_f16 v83, v98, v106, v83
	;;#ASMEND
	;;#ASMSTART
	v_dot2_f32_f16 v83, v99, v107, v83
	;;#ASMEND
	;;#ASMSTART
	v_dot2_f32_f16 v83, v100, v108, v83
	;;#ASMEND
	;;#ASMSTART
	v_dot2_f32_f16 v83, v101, v109, v83
	;;#ASMEND
	;; [unrolled: 13-line block ×5, first 2 shown]
	;;#ASMSTART
	v_dot2_f32_f16 v87, v118, v106, v87
	;;#ASMEND
	;;#ASMSTART
	v_dot2_f32_f16 v87, v119, v107, v87
	;;#ASMEND
	;; [unrolled: 3-line block ×12, first 2 shown]
	s_waitcnt lgkmcnt(1)
	;;#ASMSTART
	v_dot2_f32_f16 v90, v122, v102, v90
	;;#ASMEND
	;;#ASMSTART
	v_dot2_f32_f16 v90, v123, v103, v90
	;;#ASMEND
	;; [unrolled: 3-line block ×16, first 2 shown]
	s_waitcnt lgkmcnt(0)
	;;#ASMSTART
	v_dot2_f32_f16 v94, v126, v102, v94
	;;#ASMEND
	;;#ASMSTART
	v_dot2_f32_f16 v94, v127, v103, v94
	;;#ASMEND
	;; [unrolled: 3-line block ×16, first 2 shown]
	ds_read_b128 v[98:101], v49 offset:64
	ds_read_b128 v[102:105], v33 offset:320
	ds_read_b128 v[106:109], v33 offset:960
	ds_read_b128 v[110:113], v33 offset:1600
	ds_read_b128 v[114:117], v33 offset:2240
	ds_read_b128 v[118:121], v49 offset:4672
	ds_read_b128 v[122:125], v49 offset:9280
	ds_read_b128 v[126:129], v49 offset:13888
	s_waitcnt lgkmcnt(6)
	;;#ASMSTART
	v_dot2_f32_f16 v82, v98, v102, v82
	;;#ASMEND
	;;#ASMSTART
	v_dot2_f32_f16 v82, v99, v103, v82
	;;#ASMEND
	;;#ASMSTART
	v_dot2_f32_f16 v82, v100, v104, v82
	;;#ASMEND
	;;#ASMSTART
	v_dot2_f32_f16 v82, v101, v105, v82
	;;#ASMEND
	s_waitcnt lgkmcnt(5)
	;;#ASMSTART
	v_dot2_f32_f16 v83, v98, v106, v83
	;;#ASMEND
	;;#ASMSTART
	v_dot2_f32_f16 v83, v99, v107, v83
	;;#ASMEND
	;;#ASMSTART
	v_dot2_f32_f16 v83, v100, v108, v83
	;;#ASMEND
	;;#ASMSTART
	v_dot2_f32_f16 v83, v101, v109, v83
	;;#ASMEND
	;; [unrolled: 13-line block ×5, first 2 shown]
	;;#ASMSTART
	v_dot2_f32_f16 v87, v118, v106, v87
	;;#ASMEND
	;;#ASMSTART
	v_dot2_f32_f16 v87, v119, v107, v87
	;;#ASMEND
	;; [unrolled: 3-line block ×12, first 2 shown]
	s_waitcnt lgkmcnt(1)
	;;#ASMSTART
	v_dot2_f32_f16 v90, v122, v102, v90
	;;#ASMEND
	;;#ASMSTART
	v_dot2_f32_f16 v90, v123, v103, v90
	;;#ASMEND
	;; [unrolled: 3-line block ×16, first 2 shown]
	s_waitcnt lgkmcnt(0)
	;;#ASMSTART
	v_dot2_f32_f16 v94, v126, v102, v94
	;;#ASMEND
	;;#ASMSTART
	v_dot2_f32_f16 v94, v127, v103, v94
	;;#ASMEND
	;; [unrolled: 3-line block ×16, first 2 shown]
	ds_read_b128 v[98:101], v49 offset:80
	ds_read_b128 v[102:105], v33 offset:336
	;; [unrolled: 1-line block ×8, first 2 shown]
	s_waitcnt lgkmcnt(6)
	;;#ASMSTART
	v_dot2_f32_f16 v82, v98, v102, v82
	;;#ASMEND
	;;#ASMSTART
	v_dot2_f32_f16 v82, v99, v103, v82
	;;#ASMEND
	;;#ASMSTART
	v_dot2_f32_f16 v82, v100, v104, v82
	;;#ASMEND
	;;#ASMSTART
	v_dot2_f32_f16 v82, v101, v105, v82
	;;#ASMEND
	s_waitcnt lgkmcnt(5)
	;;#ASMSTART
	v_dot2_f32_f16 v83, v98, v106, v83
	;;#ASMEND
	;;#ASMSTART
	v_dot2_f32_f16 v83, v99, v107, v83
	;;#ASMEND
	;;#ASMSTART
	v_dot2_f32_f16 v83, v100, v108, v83
	;;#ASMEND
	;;#ASMSTART
	v_dot2_f32_f16 v83, v101, v109, v83
	;;#ASMEND
	;; [unrolled: 13-line block ×5, first 2 shown]
	;;#ASMSTART
	v_dot2_f32_f16 v87, v118, v106, v87
	;;#ASMEND
	;;#ASMSTART
	v_dot2_f32_f16 v87, v119, v107, v87
	;;#ASMEND
	;; [unrolled: 3-line block ×12, first 2 shown]
	s_waitcnt lgkmcnt(1)
	;;#ASMSTART
	v_dot2_f32_f16 v90, v122, v102, v90
	;;#ASMEND
	;;#ASMSTART
	v_dot2_f32_f16 v90, v123, v103, v90
	;;#ASMEND
	;; [unrolled: 3-line block ×16, first 2 shown]
	s_waitcnt lgkmcnt(0)
	;;#ASMSTART
	v_dot2_f32_f16 v94, v126, v102, v94
	;;#ASMEND
	;;#ASMSTART
	v_dot2_f32_f16 v94, v127, v103, v94
	;;#ASMEND
	;; [unrolled: 3-line block ×16, first 2 shown]
	ds_read_b128 v[98:101], v49 offset:96
	ds_read_b128 v[102:105], v33 offset:352
	;; [unrolled: 1-line block ×8, first 2 shown]
	s_waitcnt lgkmcnt(6)
	;;#ASMSTART
	v_dot2_f32_f16 v82, v98, v102, v82
	;;#ASMEND
	;;#ASMSTART
	v_dot2_f32_f16 v82, v99, v103, v82
	;;#ASMEND
	;;#ASMSTART
	v_dot2_f32_f16 v82, v100, v104, v82
	;;#ASMEND
	;;#ASMSTART
	v_dot2_f32_f16 v82, v101, v105, v82
	;;#ASMEND
	s_waitcnt lgkmcnt(5)
	;;#ASMSTART
	v_dot2_f32_f16 v83, v98, v106, v83
	;;#ASMEND
	;;#ASMSTART
	v_dot2_f32_f16 v83, v99, v107, v83
	;;#ASMEND
	;;#ASMSTART
	v_dot2_f32_f16 v83, v100, v108, v83
	;;#ASMEND
	;;#ASMSTART
	v_dot2_f32_f16 v83, v101, v109, v83
	;;#ASMEND
	;; [unrolled: 13-line block ×5, first 2 shown]
	;;#ASMSTART
	v_dot2_f32_f16 v87, v118, v106, v87
	;;#ASMEND
	;;#ASMSTART
	v_dot2_f32_f16 v87, v119, v107, v87
	;;#ASMEND
	;; [unrolled: 3-line block ×12, first 2 shown]
	s_waitcnt lgkmcnt(1)
	;;#ASMSTART
	v_dot2_f32_f16 v90, v122, v102, v90
	;;#ASMEND
	;;#ASMSTART
	v_dot2_f32_f16 v90, v123, v103, v90
	;;#ASMEND
	;; [unrolled: 3-line block ×16, first 2 shown]
	s_waitcnt lgkmcnt(0)
	;;#ASMSTART
	v_dot2_f32_f16 v94, v126, v102, v94
	;;#ASMEND
	;;#ASMSTART
	v_dot2_f32_f16 v94, v127, v103, v94
	;;#ASMEND
	;; [unrolled: 3-line block ×16, first 2 shown]
	ds_read_b128 v[98:101], v49 offset:112
	ds_read_b128 v[102:105], v33 offset:368
	;; [unrolled: 1-line block ×8, first 2 shown]
	s_waitcnt lgkmcnt(6)
	;;#ASMSTART
	v_dot2_f32_f16 v82, v98, v102, v82
	;;#ASMEND
	;;#ASMSTART
	v_dot2_f32_f16 v82, v99, v103, v82
	;;#ASMEND
	;;#ASMSTART
	v_dot2_f32_f16 v82, v100, v104, v82
	;;#ASMEND
	;;#ASMSTART
	v_dot2_f32_f16 v82, v101, v105, v82
	;;#ASMEND
	s_waitcnt lgkmcnt(5)
	;;#ASMSTART
	v_dot2_f32_f16 v83, v98, v106, v83
	;;#ASMEND
	;;#ASMSTART
	v_dot2_f32_f16 v83, v99, v107, v83
	;;#ASMEND
	;;#ASMSTART
	v_dot2_f32_f16 v83, v100, v108, v83
	;;#ASMEND
	;;#ASMSTART
	v_dot2_f32_f16 v83, v101, v109, v83
	;;#ASMEND
	;; [unrolled: 13-line block ×5, first 2 shown]
	;;#ASMSTART
	v_dot2_f32_f16 v87, v118, v106, v87
	;;#ASMEND
	;;#ASMSTART
	v_dot2_f32_f16 v87, v119, v107, v87
	;;#ASMEND
	;; [unrolled: 3-line block ×12, first 2 shown]
	s_waitcnt lgkmcnt(1)
	;;#ASMSTART
	v_dot2_f32_f16 v90, v122, v102, v90
	;;#ASMEND
	;;#ASMSTART
	v_dot2_f32_f16 v90, v123, v103, v90
	;;#ASMEND
	;; [unrolled: 3-line block ×16, first 2 shown]
	s_waitcnt lgkmcnt(0)
	;;#ASMSTART
	v_dot2_f32_f16 v94, v126, v102, v94
	;;#ASMEND
	;;#ASMSTART
	v_dot2_f32_f16 v94, v127, v103, v94
	;;#ASMEND
	;; [unrolled: 3-line block ×16, first 2 shown]
	s_barrier
	buffer_gl0_inv
	global_load_dwordx4 v[98:101], v[24:25], off offset:384
	s_waitcnt vmcnt(0)
	ds_write_b128 v44, v[98:101]
	global_load_dwordx4 v[98:101], v[26:27], off offset:384
	s_waitcnt vmcnt(0)
	ds_write_b128 v45, v[98:101]
	;; [unrolled: 3-line block ×4, first 2 shown]
	s_waitcnt lgkmcnt(0)
	s_barrier
	buffer_gl0_inv
	ds_read_b128 v[98:101], v49
	ds_read_b128 v[102:105], v33 offset:384
	ds_read_b128 v[106:109], v33 offset:1024
	;; [unrolled: 1-line block ×7, first 2 shown]
	s_waitcnt lgkmcnt(6)
	;;#ASMSTART
	v_dot2_f32_f16 v82, v98, v102, v82
	;;#ASMEND
	;;#ASMSTART
	v_dot2_f32_f16 v82, v99, v103, v82
	;;#ASMEND
	;;#ASMSTART
	v_dot2_f32_f16 v82, v100, v104, v82
	;;#ASMEND
	;;#ASMSTART
	v_dot2_f32_f16 v82, v101, v105, v82
	;;#ASMEND
	s_waitcnt lgkmcnt(5)
	;;#ASMSTART
	v_dot2_f32_f16 v83, v98, v106, v83
	;;#ASMEND
	;;#ASMSTART
	v_dot2_f32_f16 v83, v99, v107, v83
	;;#ASMEND
	;;#ASMSTART
	v_dot2_f32_f16 v83, v100, v108, v83
	;;#ASMEND
	;;#ASMSTART
	v_dot2_f32_f16 v83, v101, v109, v83
	;;#ASMEND
	;; [unrolled: 13-line block ×5, first 2 shown]
	;;#ASMSTART
	v_dot2_f32_f16 v87, v118, v106, v87
	;;#ASMEND
	;;#ASMSTART
	v_dot2_f32_f16 v87, v119, v107, v87
	;;#ASMEND
	;; [unrolled: 3-line block ×12, first 2 shown]
	s_waitcnt lgkmcnt(1)
	;;#ASMSTART
	v_dot2_f32_f16 v90, v122, v102, v90
	;;#ASMEND
	;;#ASMSTART
	v_dot2_f32_f16 v90, v123, v103, v90
	;;#ASMEND
	;; [unrolled: 3-line block ×16, first 2 shown]
	s_waitcnt lgkmcnt(0)
	;;#ASMSTART
	v_dot2_f32_f16 v94, v126, v102, v94
	;;#ASMEND
	;;#ASMSTART
	v_dot2_f32_f16 v94, v127, v103, v94
	;;#ASMEND
	;; [unrolled: 3-line block ×16, first 2 shown]
	ds_read_b128 v[98:101], v49 offset:16
	ds_read_b128 v[102:105], v33 offset:400
	;; [unrolled: 1-line block ×8, first 2 shown]
	s_waitcnt lgkmcnt(6)
	;;#ASMSTART
	v_dot2_f32_f16 v82, v98, v102, v82
	;;#ASMEND
	;;#ASMSTART
	v_dot2_f32_f16 v82, v99, v103, v82
	;;#ASMEND
	;;#ASMSTART
	v_dot2_f32_f16 v82, v100, v104, v82
	;;#ASMEND
	;;#ASMSTART
	v_dot2_f32_f16 v82, v101, v105, v82
	;;#ASMEND
	s_waitcnt lgkmcnt(5)
	;;#ASMSTART
	v_dot2_f32_f16 v83, v98, v106, v83
	;;#ASMEND
	;;#ASMSTART
	v_dot2_f32_f16 v83, v99, v107, v83
	;;#ASMEND
	;;#ASMSTART
	v_dot2_f32_f16 v83, v100, v108, v83
	;;#ASMEND
	;;#ASMSTART
	v_dot2_f32_f16 v83, v101, v109, v83
	;;#ASMEND
	;; [unrolled: 13-line block ×5, first 2 shown]
	;;#ASMSTART
	v_dot2_f32_f16 v87, v118, v106, v87
	;;#ASMEND
	;;#ASMSTART
	v_dot2_f32_f16 v87, v119, v107, v87
	;;#ASMEND
	;; [unrolled: 3-line block ×12, first 2 shown]
	s_waitcnt lgkmcnt(1)
	;;#ASMSTART
	v_dot2_f32_f16 v90, v122, v102, v90
	;;#ASMEND
	;;#ASMSTART
	v_dot2_f32_f16 v90, v123, v103, v90
	;;#ASMEND
	;; [unrolled: 3-line block ×16, first 2 shown]
	s_waitcnt lgkmcnt(0)
	;;#ASMSTART
	v_dot2_f32_f16 v94, v126, v102, v94
	;;#ASMEND
	;;#ASMSTART
	v_dot2_f32_f16 v94, v127, v103, v94
	;;#ASMEND
	;; [unrolled: 3-line block ×16, first 2 shown]
	ds_read_b128 v[98:101], v49 offset:32
	ds_read_b128 v[102:105], v33 offset:416
	;; [unrolled: 1-line block ×8, first 2 shown]
	s_waitcnt lgkmcnt(6)
	;;#ASMSTART
	v_dot2_f32_f16 v82, v98, v102, v82
	;;#ASMEND
	;;#ASMSTART
	v_dot2_f32_f16 v82, v99, v103, v82
	;;#ASMEND
	;;#ASMSTART
	v_dot2_f32_f16 v82, v100, v104, v82
	;;#ASMEND
	;;#ASMSTART
	v_dot2_f32_f16 v82, v101, v105, v82
	;;#ASMEND
	s_waitcnt lgkmcnt(5)
	;;#ASMSTART
	v_dot2_f32_f16 v83, v98, v106, v83
	;;#ASMEND
	;;#ASMSTART
	v_dot2_f32_f16 v83, v99, v107, v83
	;;#ASMEND
	;;#ASMSTART
	v_dot2_f32_f16 v83, v100, v108, v83
	;;#ASMEND
	;;#ASMSTART
	v_dot2_f32_f16 v83, v101, v109, v83
	;;#ASMEND
	;; [unrolled: 13-line block ×5, first 2 shown]
	;;#ASMSTART
	v_dot2_f32_f16 v87, v118, v106, v87
	;;#ASMEND
	;;#ASMSTART
	v_dot2_f32_f16 v87, v119, v107, v87
	;;#ASMEND
	;; [unrolled: 3-line block ×12, first 2 shown]
	s_waitcnt lgkmcnt(1)
	;;#ASMSTART
	v_dot2_f32_f16 v90, v122, v102, v90
	;;#ASMEND
	;;#ASMSTART
	v_dot2_f32_f16 v90, v123, v103, v90
	;;#ASMEND
	;; [unrolled: 3-line block ×16, first 2 shown]
	s_waitcnt lgkmcnt(0)
	;;#ASMSTART
	v_dot2_f32_f16 v94, v126, v102, v94
	;;#ASMEND
	;;#ASMSTART
	v_dot2_f32_f16 v94, v127, v103, v94
	;;#ASMEND
	;; [unrolled: 3-line block ×16, first 2 shown]
	ds_read_b128 v[98:101], v49 offset:48
	ds_read_b128 v[102:105], v33 offset:432
	;; [unrolled: 1-line block ×8, first 2 shown]
	s_waitcnt lgkmcnt(6)
	;;#ASMSTART
	v_dot2_f32_f16 v82, v98, v102, v82
	;;#ASMEND
	;;#ASMSTART
	v_dot2_f32_f16 v82, v99, v103, v82
	;;#ASMEND
	;;#ASMSTART
	v_dot2_f32_f16 v82, v100, v104, v82
	;;#ASMEND
	;;#ASMSTART
	v_dot2_f32_f16 v82, v101, v105, v82
	;;#ASMEND
	s_waitcnt lgkmcnt(5)
	;;#ASMSTART
	v_dot2_f32_f16 v83, v98, v106, v83
	;;#ASMEND
	;;#ASMSTART
	v_dot2_f32_f16 v83, v99, v107, v83
	;;#ASMEND
	;;#ASMSTART
	v_dot2_f32_f16 v83, v100, v108, v83
	;;#ASMEND
	;;#ASMSTART
	v_dot2_f32_f16 v83, v101, v109, v83
	;;#ASMEND
	;; [unrolled: 13-line block ×5, first 2 shown]
	;;#ASMSTART
	v_dot2_f32_f16 v87, v118, v106, v87
	;;#ASMEND
	;;#ASMSTART
	v_dot2_f32_f16 v87, v119, v107, v87
	;;#ASMEND
	;;#ASMSTART
	v_dot2_f32_f16 v87, v120, v108, v87
	;;#ASMEND
	;;#ASMSTART
	v_dot2_f32_f16 v87, v121, v109, v87
	;;#ASMEND
	;;#ASMSTART
	v_dot2_f32_f16 v88, v118, v110, v88
	;;#ASMEND
	;;#ASMSTART
	v_dot2_f32_f16 v88, v119, v111, v88
	;;#ASMEND
	;;#ASMSTART
	v_dot2_f32_f16 v88, v120, v112, v88
	;;#ASMEND
	;;#ASMSTART
	v_dot2_f32_f16 v88, v121, v113, v88
	;;#ASMEND
	;;#ASMSTART
	v_dot2_f32_f16 v89, v118, v114, v89
	;;#ASMEND
	;;#ASMSTART
	v_dot2_f32_f16 v89, v119, v115, v89
	;;#ASMEND
	;;#ASMSTART
	v_dot2_f32_f16 v89, v120, v116, v89
	;;#ASMEND
	;;#ASMSTART
	v_dot2_f32_f16 v89, v121, v117, v89
	;;#ASMEND
	s_waitcnt lgkmcnt(1)
	;;#ASMSTART
	v_dot2_f32_f16 v90, v122, v102, v90
	;;#ASMEND
	;;#ASMSTART
	v_dot2_f32_f16 v90, v123, v103, v90
	;;#ASMEND
	;; [unrolled: 3-line block ×16, first 2 shown]
	s_waitcnt lgkmcnt(0)
	;;#ASMSTART
	v_dot2_f32_f16 v94, v126, v102, v94
	;;#ASMEND
	;;#ASMSTART
	v_dot2_f32_f16 v94, v127, v103, v94
	;;#ASMEND
	;;#ASMSTART
	v_dot2_f32_f16 v94, v128, v104, v94
	;;#ASMEND
	;;#ASMSTART
	v_dot2_f32_f16 v94, v129, v105, v94
	;;#ASMEND
	;;#ASMSTART
	v_dot2_f32_f16 v95, v126, v106, v95
	;;#ASMEND
	;;#ASMSTART
	v_dot2_f32_f16 v95, v127, v107, v95
	;;#ASMEND
	;;#ASMSTART
	v_dot2_f32_f16 v95, v128, v108, v95
	;;#ASMEND
	;;#ASMSTART
	v_dot2_f32_f16 v95, v129, v109, v95
	;;#ASMEND
	;;#ASMSTART
	v_dot2_f32_f16 v96, v126, v110, v96
	;;#ASMEND
	;;#ASMSTART
	v_dot2_f32_f16 v96, v127, v111, v96
	;;#ASMEND
	;;#ASMSTART
	v_dot2_f32_f16 v96, v128, v112, v96
	;;#ASMEND
	;;#ASMSTART
	v_dot2_f32_f16 v96, v129, v113, v96
	;;#ASMEND
	;;#ASMSTART
	v_dot2_f32_f16 v97, v126, v114, v97
	;;#ASMEND
	;;#ASMSTART
	v_dot2_f32_f16 v97, v127, v115, v97
	;;#ASMEND
	;;#ASMSTART
	v_dot2_f32_f16 v97, v128, v116, v97
	;;#ASMEND
	;;#ASMSTART
	v_dot2_f32_f16 v97, v129, v117, v97
	;;#ASMEND
	ds_read_b128 v[98:101], v49 offset:64
	ds_read_b128 v[102:105], v33 offset:448
	ds_read_b128 v[106:109], v33 offset:1088
	ds_read_b128 v[110:113], v33 offset:1728
	ds_read_b128 v[114:117], v33 offset:2368
	ds_read_b128 v[118:121], v49 offset:4672
	ds_read_b128 v[122:125], v49 offset:9280
	ds_read_b128 v[126:129], v49 offset:13888
	s_waitcnt lgkmcnt(6)
	;;#ASMSTART
	v_dot2_f32_f16 v82, v98, v102, v82
	;;#ASMEND
	;;#ASMSTART
	v_dot2_f32_f16 v82, v99, v103, v82
	;;#ASMEND
	;;#ASMSTART
	v_dot2_f32_f16 v82, v100, v104, v82
	;;#ASMEND
	;;#ASMSTART
	v_dot2_f32_f16 v82, v101, v105, v82
	;;#ASMEND
	s_waitcnt lgkmcnt(5)
	;;#ASMSTART
	v_dot2_f32_f16 v83, v98, v106, v83
	;;#ASMEND
	;;#ASMSTART
	v_dot2_f32_f16 v83, v99, v107, v83
	;;#ASMEND
	;;#ASMSTART
	v_dot2_f32_f16 v83, v100, v108, v83
	;;#ASMEND
	;;#ASMSTART
	v_dot2_f32_f16 v83, v101, v109, v83
	;;#ASMEND
	;; [unrolled: 13-line block ×5, first 2 shown]
	;;#ASMSTART
	v_dot2_f32_f16 v87, v118, v106, v87
	;;#ASMEND
	;;#ASMSTART
	v_dot2_f32_f16 v87, v119, v107, v87
	;;#ASMEND
	;; [unrolled: 3-line block ×12, first 2 shown]
	s_waitcnt lgkmcnt(1)
	;;#ASMSTART
	v_dot2_f32_f16 v90, v122, v102, v90
	;;#ASMEND
	;;#ASMSTART
	v_dot2_f32_f16 v90, v123, v103, v90
	;;#ASMEND
	;; [unrolled: 3-line block ×16, first 2 shown]
	s_waitcnt lgkmcnt(0)
	;;#ASMSTART
	v_dot2_f32_f16 v94, v126, v102, v94
	;;#ASMEND
	;;#ASMSTART
	v_dot2_f32_f16 v94, v127, v103, v94
	;;#ASMEND
	;; [unrolled: 3-line block ×16, first 2 shown]
	ds_read_b128 v[98:101], v49 offset:80
	ds_read_b128 v[102:105], v33 offset:464
	;; [unrolled: 1-line block ×8, first 2 shown]
	s_waitcnt lgkmcnt(6)
	;;#ASMSTART
	v_dot2_f32_f16 v82, v98, v102, v82
	;;#ASMEND
	;;#ASMSTART
	v_dot2_f32_f16 v82, v99, v103, v82
	;;#ASMEND
	;;#ASMSTART
	v_dot2_f32_f16 v82, v100, v104, v82
	;;#ASMEND
	;;#ASMSTART
	v_dot2_f32_f16 v82, v101, v105, v82
	;;#ASMEND
	s_waitcnt lgkmcnt(5)
	;;#ASMSTART
	v_dot2_f32_f16 v83, v98, v106, v83
	;;#ASMEND
	;;#ASMSTART
	v_dot2_f32_f16 v83, v99, v107, v83
	;;#ASMEND
	;;#ASMSTART
	v_dot2_f32_f16 v83, v100, v108, v83
	;;#ASMEND
	;;#ASMSTART
	v_dot2_f32_f16 v83, v101, v109, v83
	;;#ASMEND
	;; [unrolled: 13-line block ×5, first 2 shown]
	;;#ASMSTART
	v_dot2_f32_f16 v87, v118, v106, v87
	;;#ASMEND
	;;#ASMSTART
	v_dot2_f32_f16 v87, v119, v107, v87
	;;#ASMEND
	;; [unrolled: 3-line block ×12, first 2 shown]
	s_waitcnt lgkmcnt(1)
	;;#ASMSTART
	v_dot2_f32_f16 v90, v122, v102, v90
	;;#ASMEND
	;;#ASMSTART
	v_dot2_f32_f16 v90, v123, v103, v90
	;;#ASMEND
	;; [unrolled: 3-line block ×16, first 2 shown]
	s_waitcnt lgkmcnt(0)
	;;#ASMSTART
	v_dot2_f32_f16 v94, v126, v102, v94
	;;#ASMEND
	;;#ASMSTART
	v_dot2_f32_f16 v94, v127, v103, v94
	;;#ASMEND
	;; [unrolled: 3-line block ×16, first 2 shown]
	ds_read_b128 v[98:101], v49 offset:96
	ds_read_b128 v[102:105], v33 offset:480
	;; [unrolled: 1-line block ×8, first 2 shown]
	s_waitcnt lgkmcnt(6)
	;;#ASMSTART
	v_dot2_f32_f16 v82, v98, v102, v82
	;;#ASMEND
	;;#ASMSTART
	v_dot2_f32_f16 v82, v99, v103, v82
	;;#ASMEND
	;;#ASMSTART
	v_dot2_f32_f16 v82, v100, v104, v82
	;;#ASMEND
	;;#ASMSTART
	v_dot2_f32_f16 v82, v101, v105, v82
	;;#ASMEND
	s_waitcnt lgkmcnt(5)
	;;#ASMSTART
	v_dot2_f32_f16 v83, v98, v106, v83
	;;#ASMEND
	;;#ASMSTART
	v_dot2_f32_f16 v83, v99, v107, v83
	;;#ASMEND
	;;#ASMSTART
	v_dot2_f32_f16 v83, v100, v108, v83
	;;#ASMEND
	;;#ASMSTART
	v_dot2_f32_f16 v83, v101, v109, v83
	;;#ASMEND
	;; [unrolled: 13-line block ×5, first 2 shown]
	;;#ASMSTART
	v_dot2_f32_f16 v87, v118, v106, v87
	;;#ASMEND
	;;#ASMSTART
	v_dot2_f32_f16 v87, v119, v107, v87
	;;#ASMEND
	;; [unrolled: 3-line block ×12, first 2 shown]
	s_waitcnt lgkmcnt(1)
	;;#ASMSTART
	v_dot2_f32_f16 v90, v122, v102, v90
	;;#ASMEND
	;;#ASMSTART
	v_dot2_f32_f16 v90, v123, v103, v90
	;;#ASMEND
	;; [unrolled: 3-line block ×16, first 2 shown]
	s_waitcnt lgkmcnt(0)
	;;#ASMSTART
	v_dot2_f32_f16 v94, v126, v102, v94
	;;#ASMEND
	;;#ASMSTART
	v_dot2_f32_f16 v94, v127, v103, v94
	;;#ASMEND
	;; [unrolled: 3-line block ×16, first 2 shown]
	ds_read_b128 v[98:101], v49 offset:112
	ds_read_b128 v[102:105], v33 offset:496
	;; [unrolled: 1-line block ×8, first 2 shown]
	s_waitcnt lgkmcnt(6)
	;;#ASMSTART
	v_dot2_f32_f16 v82, v98, v102, v82
	;;#ASMEND
	;;#ASMSTART
	v_dot2_f32_f16 v82, v99, v103, v82
	;;#ASMEND
	;;#ASMSTART
	v_dot2_f32_f16 v82, v100, v104, v82
	;;#ASMEND
	;;#ASMSTART
	v_dot2_f32_f16 v82, v101, v105, v82
	;;#ASMEND
	s_waitcnt lgkmcnt(5)
	;;#ASMSTART
	v_dot2_f32_f16 v83, v98, v106, v83
	;;#ASMEND
	;;#ASMSTART
	v_dot2_f32_f16 v83, v99, v107, v83
	;;#ASMEND
	;;#ASMSTART
	v_dot2_f32_f16 v83, v100, v108, v83
	;;#ASMEND
	;;#ASMSTART
	v_dot2_f32_f16 v83, v101, v109, v83
	;;#ASMEND
	s_waitcnt lgkmcnt(4)
	;;#ASMSTART
	v_dot2_f32_f16 v84, v98, v110, v84
	;;#ASMEND
	;;#ASMSTART
	v_dot2_f32_f16 v84, v99, v111, v84
	;;#ASMEND
	;;#ASMSTART
	v_dot2_f32_f16 v84, v100, v112, v84
	;;#ASMEND
	;;#ASMSTART
	v_dot2_f32_f16 v84, v101, v113, v84
	;;#ASMEND
	s_waitcnt lgkmcnt(3)
	;;#ASMSTART
	v_dot2_f32_f16 v85, v98, v114, v85
	;;#ASMEND
	;;#ASMSTART
	v_dot2_f32_f16 v85, v99, v115, v85
	;;#ASMEND
	;;#ASMSTART
	v_dot2_f32_f16 v85, v100, v116, v85
	;;#ASMEND
	;;#ASMSTART
	v_dot2_f32_f16 v85, v101, v117, v85
	;;#ASMEND
	s_waitcnt lgkmcnt(2)
	;;#ASMSTART
	v_dot2_f32_f16 v86, v118, v102, v86
	;;#ASMEND
	;;#ASMSTART
	v_dot2_f32_f16 v86, v119, v103, v86
	;;#ASMEND
	;;#ASMSTART
	v_dot2_f32_f16 v86, v120, v104, v86
	;;#ASMEND
	;;#ASMSTART
	v_dot2_f32_f16 v86, v121, v105, v86
	;;#ASMEND
	;;#ASMSTART
	v_dot2_f32_f16 v87, v118, v106, v87
	;;#ASMEND
	;;#ASMSTART
	v_dot2_f32_f16 v87, v119, v107, v87
	;;#ASMEND
	;;#ASMSTART
	v_dot2_f32_f16 v87, v120, v108, v87
	;;#ASMEND
	;;#ASMSTART
	v_dot2_f32_f16 v87, v121, v109, v87
	;;#ASMEND
	;;#ASMSTART
	v_dot2_f32_f16 v88, v118, v110, v88
	;;#ASMEND
	;;#ASMSTART
	v_dot2_f32_f16 v88, v119, v111, v88
	;;#ASMEND
	;;#ASMSTART
	v_dot2_f32_f16 v88, v120, v112, v88
	;;#ASMEND
	;;#ASMSTART
	v_dot2_f32_f16 v88, v121, v113, v88
	;;#ASMEND
	;;#ASMSTART
	v_dot2_f32_f16 v89, v118, v114, v89
	;;#ASMEND
	;;#ASMSTART
	v_dot2_f32_f16 v89, v119, v115, v89
	;;#ASMEND
	;;#ASMSTART
	v_dot2_f32_f16 v89, v120, v116, v89
	;;#ASMEND
	;;#ASMSTART
	v_dot2_f32_f16 v89, v121, v117, v89
	;;#ASMEND
	s_waitcnt lgkmcnt(1)
	;;#ASMSTART
	v_dot2_f32_f16 v90, v122, v102, v90
	;;#ASMEND
	;;#ASMSTART
	v_dot2_f32_f16 v90, v123, v103, v90
	;;#ASMEND
	;; [unrolled: 3-line block ×16, first 2 shown]
	s_waitcnt lgkmcnt(0)
	;;#ASMSTART
	v_dot2_f32_f16 v94, v126, v102, v94
	;;#ASMEND
	;;#ASMSTART
	v_dot2_f32_f16 v94, v127, v103, v94
	;;#ASMEND
	;; [unrolled: 3-line block ×16, first 2 shown]
	s_barrier
	buffer_gl0_inv
	s_clause 0x1
	global_load_dwordx4 v[98:101], v[24:25], off offset:512
	global_load_dwordx4 v[24:27], v[26:27], off offset:512
	s_waitcnt vmcnt(1)
	ds_write_b128 v44, v[98:101]
	s_waitcnt vmcnt(0)
	ds_write_b128 v45, v[24:27]
	global_load_dwordx4 v[24:27], v[28:29], off offset:512
	s_waitcnt vmcnt(0)
	ds_write_b128 v46, v[24:27]
	global_load_dwordx4 v[24:27], v[30:31], off offset:512
	s_waitcnt vmcnt(0)
	ds_write_b128 v47, v[24:27]
	s_waitcnt lgkmcnt(0)
	s_barrier
	buffer_gl0_inv
	ds_read_b128 v[24:27], v49
	ds_read_b128 v[28:31], v33 offset:512
	ds_read_b128 v[98:101], v33 offset:1152
	;; [unrolled: 1-line block ×7, first 2 shown]
	s_waitcnt lgkmcnt(6)
	;;#ASMSTART
	v_dot2_f32_f16 v82, v24, v28, v82
	;;#ASMEND
	;;#ASMSTART
	v_dot2_f32_f16 v82, v25, v29, v82
	;;#ASMEND
	;;#ASMSTART
	v_dot2_f32_f16 v82, v26, v30, v82
	;;#ASMEND
	;;#ASMSTART
	v_dot2_f32_f16 v82, v27, v31, v82
	;;#ASMEND
	s_waitcnt lgkmcnt(5)
	;;#ASMSTART
	v_dot2_f32_f16 v83, v24, v98, v83
	;;#ASMEND
	;;#ASMSTART
	v_dot2_f32_f16 v83, v25, v99, v83
	;;#ASMEND
	;;#ASMSTART
	v_dot2_f32_f16 v83, v26, v100, v83
	;;#ASMEND
	;;#ASMSTART
	v_dot2_f32_f16 v83, v27, v101, v83
	;;#ASMEND
	;; [unrolled: 13-line block ×5, first 2 shown]
	;;#ASMSTART
	v_dot2_f32_f16 v87, v110, v98, v87
	;;#ASMEND
	;;#ASMSTART
	v_dot2_f32_f16 v87, v111, v99, v87
	;;#ASMEND
	;; [unrolled: 3-line block ×12, first 2 shown]
	s_waitcnt lgkmcnt(1)
	;;#ASMSTART
	v_dot2_f32_f16 v90, v114, v28, v90
	;;#ASMEND
	;;#ASMSTART
	v_dot2_f32_f16 v90, v115, v29, v90
	;;#ASMEND
	;;#ASMSTART
	v_dot2_f32_f16 v90, v116, v30, v90
	;;#ASMEND
	;;#ASMSTART
	v_dot2_f32_f16 v90, v117, v31, v90
	;;#ASMEND
	;;#ASMSTART
	v_dot2_f32_f16 v91, v114, v98, v91
	;;#ASMEND
	;;#ASMSTART
	v_dot2_f32_f16 v91, v115, v99, v91
	;;#ASMEND
	;;#ASMSTART
	v_dot2_f32_f16 v91, v116, v100, v91
	;;#ASMEND
	;;#ASMSTART
	v_dot2_f32_f16 v91, v117, v101, v91
	;;#ASMEND
	;;#ASMSTART
	v_dot2_f32_f16 v92, v114, v102, v92
	;;#ASMEND
	;;#ASMSTART
	v_dot2_f32_f16 v92, v115, v103, v92
	;;#ASMEND
	;;#ASMSTART
	v_dot2_f32_f16 v92, v116, v104, v92
	;;#ASMEND
	;;#ASMSTART
	v_dot2_f32_f16 v92, v117, v105, v92
	;;#ASMEND
	;;#ASMSTART
	v_dot2_f32_f16 v93, v114, v106, v93
	;;#ASMEND
	;;#ASMSTART
	v_dot2_f32_f16 v93, v115, v107, v93
	;;#ASMEND
	;;#ASMSTART
	v_dot2_f32_f16 v93, v116, v108, v93
	;;#ASMEND
	;;#ASMSTART
	v_dot2_f32_f16 v93, v117, v109, v93
	;;#ASMEND
	s_waitcnt lgkmcnt(0)
	;;#ASMSTART
	v_dot2_f32_f16 v94, v118, v28, v94
	;;#ASMEND
	;;#ASMSTART
	v_dot2_f32_f16 v94, v119, v29, v94
	;;#ASMEND
	;; [unrolled: 3-line block ×16, first 2 shown]
	ds_read_b128 v[24:27], v49 offset:16
	ds_read_b128 v[28:31], v33 offset:528
	;; [unrolled: 1-line block ×8, first 2 shown]
	s_waitcnt lgkmcnt(6)
	;;#ASMSTART
	v_dot2_f32_f16 v82, v24, v28, v82
	;;#ASMEND
	;;#ASMSTART
	v_dot2_f32_f16 v82, v25, v29, v82
	;;#ASMEND
	;;#ASMSTART
	v_dot2_f32_f16 v82, v26, v30, v82
	;;#ASMEND
	;;#ASMSTART
	v_dot2_f32_f16 v82, v27, v31, v82
	;;#ASMEND
	s_waitcnt lgkmcnt(5)
	;;#ASMSTART
	v_dot2_f32_f16 v83, v24, v98, v83
	;;#ASMEND
	;;#ASMSTART
	v_dot2_f32_f16 v83, v25, v99, v83
	;;#ASMEND
	;;#ASMSTART
	v_dot2_f32_f16 v83, v26, v100, v83
	;;#ASMEND
	;;#ASMSTART
	v_dot2_f32_f16 v83, v27, v101, v83
	;;#ASMEND
	;; [unrolled: 13-line block ×5, first 2 shown]
	;;#ASMSTART
	v_dot2_f32_f16 v87, v110, v98, v87
	;;#ASMEND
	;;#ASMSTART
	v_dot2_f32_f16 v87, v111, v99, v87
	;;#ASMEND
	;; [unrolled: 3-line block ×12, first 2 shown]
	s_waitcnt lgkmcnt(1)
	;;#ASMSTART
	v_dot2_f32_f16 v90, v114, v28, v90
	;;#ASMEND
	;;#ASMSTART
	v_dot2_f32_f16 v90, v115, v29, v90
	;;#ASMEND
	;; [unrolled: 3-line block ×16, first 2 shown]
	s_waitcnt lgkmcnt(0)
	;;#ASMSTART
	v_dot2_f32_f16 v94, v118, v28, v94
	;;#ASMEND
	;;#ASMSTART
	v_dot2_f32_f16 v94, v119, v29, v94
	;;#ASMEND
	;; [unrolled: 3-line block ×16, first 2 shown]
	ds_read_b128 v[24:27], v49 offset:32
	ds_read_b128 v[28:31], v33 offset:544
	;; [unrolled: 1-line block ×8, first 2 shown]
	s_waitcnt lgkmcnt(6)
	;;#ASMSTART
	v_dot2_f32_f16 v82, v24, v28, v82
	;;#ASMEND
	;;#ASMSTART
	v_dot2_f32_f16 v82, v25, v29, v82
	;;#ASMEND
	;;#ASMSTART
	v_dot2_f32_f16 v82, v26, v30, v82
	;;#ASMEND
	;;#ASMSTART
	v_dot2_f32_f16 v82, v27, v31, v82
	;;#ASMEND
	s_waitcnt lgkmcnt(5)
	;;#ASMSTART
	v_dot2_f32_f16 v83, v24, v98, v83
	;;#ASMEND
	;;#ASMSTART
	v_dot2_f32_f16 v83, v25, v99, v83
	;;#ASMEND
	;;#ASMSTART
	v_dot2_f32_f16 v83, v26, v100, v83
	;;#ASMEND
	;;#ASMSTART
	v_dot2_f32_f16 v83, v27, v101, v83
	;;#ASMEND
	;; [unrolled: 13-line block ×5, first 2 shown]
	;;#ASMSTART
	v_dot2_f32_f16 v87, v110, v98, v87
	;;#ASMEND
	;;#ASMSTART
	v_dot2_f32_f16 v87, v111, v99, v87
	;;#ASMEND
	;; [unrolled: 3-line block ×12, first 2 shown]
	s_waitcnt lgkmcnt(1)
	;;#ASMSTART
	v_dot2_f32_f16 v90, v114, v28, v90
	;;#ASMEND
	;;#ASMSTART
	v_dot2_f32_f16 v90, v115, v29, v90
	;;#ASMEND
	;; [unrolled: 3-line block ×16, first 2 shown]
	s_waitcnt lgkmcnt(0)
	;;#ASMSTART
	v_dot2_f32_f16 v94, v118, v28, v94
	;;#ASMEND
	;;#ASMSTART
	v_dot2_f32_f16 v94, v119, v29, v94
	;;#ASMEND
	;; [unrolled: 3-line block ×16, first 2 shown]
	ds_read_b128 v[24:27], v49 offset:48
	ds_read_b128 v[28:31], v33 offset:560
	;; [unrolled: 1-line block ×8, first 2 shown]
	s_waitcnt lgkmcnt(6)
	;;#ASMSTART
	v_dot2_f32_f16 v82, v24, v28, v82
	;;#ASMEND
	;;#ASMSTART
	v_dot2_f32_f16 v82, v25, v29, v82
	;;#ASMEND
	;;#ASMSTART
	v_dot2_f32_f16 v82, v26, v30, v82
	;;#ASMEND
	;;#ASMSTART
	v_dot2_f32_f16 v82, v27, v31, v82
	;;#ASMEND
	s_waitcnt lgkmcnt(5)
	;;#ASMSTART
	v_dot2_f32_f16 v83, v24, v98, v83
	;;#ASMEND
	;;#ASMSTART
	v_dot2_f32_f16 v83, v25, v99, v83
	;;#ASMEND
	;;#ASMSTART
	v_dot2_f32_f16 v83, v26, v100, v83
	;;#ASMEND
	;;#ASMSTART
	v_dot2_f32_f16 v83, v27, v101, v83
	;;#ASMEND
	;; [unrolled: 13-line block ×5, first 2 shown]
	;;#ASMSTART
	v_dot2_f32_f16 v87, v110, v98, v87
	;;#ASMEND
	;;#ASMSTART
	v_dot2_f32_f16 v87, v111, v99, v87
	;;#ASMEND
	;; [unrolled: 3-line block ×12, first 2 shown]
	s_waitcnt lgkmcnt(1)
	;;#ASMSTART
	v_dot2_f32_f16 v90, v114, v28, v90
	;;#ASMEND
	;;#ASMSTART
	v_dot2_f32_f16 v90, v115, v29, v90
	;;#ASMEND
	;;#ASMSTART
	v_dot2_f32_f16 v90, v116, v30, v90
	;;#ASMEND
	;;#ASMSTART
	v_dot2_f32_f16 v90, v117, v31, v90
	;;#ASMEND
	;;#ASMSTART
	v_dot2_f32_f16 v91, v114, v98, v91
	;;#ASMEND
	;;#ASMSTART
	v_dot2_f32_f16 v91, v115, v99, v91
	;;#ASMEND
	;;#ASMSTART
	v_dot2_f32_f16 v91, v116, v100, v91
	;;#ASMEND
	;;#ASMSTART
	v_dot2_f32_f16 v91, v117, v101, v91
	;;#ASMEND
	;;#ASMSTART
	v_dot2_f32_f16 v92, v114, v102, v92
	;;#ASMEND
	;;#ASMSTART
	v_dot2_f32_f16 v92, v115, v103, v92
	;;#ASMEND
	;;#ASMSTART
	v_dot2_f32_f16 v92, v116, v104, v92
	;;#ASMEND
	;;#ASMSTART
	v_dot2_f32_f16 v92, v117, v105, v92
	;;#ASMEND
	;;#ASMSTART
	v_dot2_f32_f16 v93, v114, v106, v93
	;;#ASMEND
	;;#ASMSTART
	v_dot2_f32_f16 v93, v115, v107, v93
	;;#ASMEND
	;;#ASMSTART
	v_dot2_f32_f16 v93, v116, v108, v93
	;;#ASMEND
	;;#ASMSTART
	v_dot2_f32_f16 v93, v117, v109, v93
	;;#ASMEND
	s_waitcnt lgkmcnt(0)
	;;#ASMSTART
	v_dot2_f32_f16 v94, v118, v28, v94
	;;#ASMEND
	;;#ASMSTART
	v_dot2_f32_f16 v94, v119, v29, v94
	;;#ASMEND
	;; [unrolled: 3-line block ×16, first 2 shown]
	ds_read_b128 v[24:27], v49 offset:64
	ds_read_b128 v[28:31], v33 offset:576
	;; [unrolled: 1-line block ×8, first 2 shown]
	s_waitcnt lgkmcnt(6)
	;;#ASMSTART
	v_dot2_f32_f16 v82, v24, v28, v82
	;;#ASMEND
	;;#ASMSTART
	v_dot2_f32_f16 v82, v25, v29, v82
	;;#ASMEND
	;;#ASMSTART
	v_dot2_f32_f16 v82, v26, v30, v82
	;;#ASMEND
	;;#ASMSTART
	v_dot2_f32_f16 v82, v27, v31, v82
	;;#ASMEND
	s_waitcnt lgkmcnt(5)
	;;#ASMSTART
	v_dot2_f32_f16 v83, v24, v98, v83
	;;#ASMEND
	;;#ASMSTART
	v_dot2_f32_f16 v83, v25, v99, v83
	;;#ASMEND
	;;#ASMSTART
	v_dot2_f32_f16 v83, v26, v100, v83
	;;#ASMEND
	;;#ASMSTART
	v_dot2_f32_f16 v83, v27, v101, v83
	;;#ASMEND
	;; [unrolled: 13-line block ×5, first 2 shown]
	;;#ASMSTART
	v_dot2_f32_f16 v87, v110, v98, v87
	;;#ASMEND
	;;#ASMSTART
	v_dot2_f32_f16 v87, v111, v99, v87
	;;#ASMEND
	;; [unrolled: 3-line block ×12, first 2 shown]
	s_waitcnt lgkmcnt(1)
	;;#ASMSTART
	v_dot2_f32_f16 v90, v114, v28, v90
	;;#ASMEND
	;;#ASMSTART
	v_dot2_f32_f16 v90, v115, v29, v90
	;;#ASMEND
	;; [unrolled: 3-line block ×16, first 2 shown]
	s_waitcnt lgkmcnt(0)
	;;#ASMSTART
	v_dot2_f32_f16 v94, v118, v28, v94
	;;#ASMEND
	;;#ASMSTART
	v_dot2_f32_f16 v94, v119, v29, v94
	;;#ASMEND
	;; [unrolled: 3-line block ×16, first 2 shown]
	ds_read_b128 v[24:27], v49 offset:80
	ds_read_b128 v[28:31], v33 offset:592
	;; [unrolled: 1-line block ×8, first 2 shown]
	s_waitcnt lgkmcnt(6)
	;;#ASMSTART
	v_dot2_f32_f16 v82, v24, v28, v82
	;;#ASMEND
	;;#ASMSTART
	v_dot2_f32_f16 v82, v25, v29, v82
	;;#ASMEND
	;;#ASMSTART
	v_dot2_f32_f16 v82, v26, v30, v82
	;;#ASMEND
	;;#ASMSTART
	v_dot2_f32_f16 v82, v27, v31, v82
	;;#ASMEND
	s_waitcnt lgkmcnt(5)
	;;#ASMSTART
	v_dot2_f32_f16 v83, v24, v98, v83
	;;#ASMEND
	;;#ASMSTART
	v_dot2_f32_f16 v83, v25, v99, v83
	;;#ASMEND
	;;#ASMSTART
	v_dot2_f32_f16 v83, v26, v100, v83
	;;#ASMEND
	;;#ASMSTART
	v_dot2_f32_f16 v83, v27, v101, v83
	;;#ASMEND
	;; [unrolled: 13-line block ×5, first 2 shown]
	;;#ASMSTART
	v_dot2_f32_f16 v87, v110, v98, v87
	;;#ASMEND
	;;#ASMSTART
	v_dot2_f32_f16 v87, v111, v99, v87
	;;#ASMEND
	;;#ASMSTART
	v_dot2_f32_f16 v87, v112, v100, v87
	;;#ASMEND
	;;#ASMSTART
	v_dot2_f32_f16 v87, v113, v101, v87
	;;#ASMEND
	;;#ASMSTART
	v_dot2_f32_f16 v88, v110, v102, v88
	;;#ASMEND
	;;#ASMSTART
	v_dot2_f32_f16 v88, v111, v103, v88
	;;#ASMEND
	;;#ASMSTART
	v_dot2_f32_f16 v88, v112, v104, v88
	;;#ASMEND
	;;#ASMSTART
	v_dot2_f32_f16 v88, v113, v105, v88
	;;#ASMEND
	;;#ASMSTART
	v_dot2_f32_f16 v89, v110, v106, v89
	;;#ASMEND
	;;#ASMSTART
	v_dot2_f32_f16 v89, v111, v107, v89
	;;#ASMEND
	;;#ASMSTART
	v_dot2_f32_f16 v89, v112, v108, v89
	;;#ASMEND
	;;#ASMSTART
	v_dot2_f32_f16 v89, v113, v109, v89
	;;#ASMEND
	s_waitcnt lgkmcnt(1)
	;;#ASMSTART
	v_dot2_f32_f16 v90, v114, v28, v90
	;;#ASMEND
	;;#ASMSTART
	v_dot2_f32_f16 v90, v115, v29, v90
	;;#ASMEND
	;; [unrolled: 3-line block ×16, first 2 shown]
	s_waitcnt lgkmcnt(0)
	;;#ASMSTART
	v_dot2_f32_f16 v94, v118, v28, v94
	;;#ASMEND
	;;#ASMSTART
	v_dot2_f32_f16 v94, v119, v29, v94
	;;#ASMEND
	;; [unrolled: 3-line block ×16, first 2 shown]
	ds_read_b128 v[24:27], v49 offset:96
	ds_read_b128 v[28:31], v33 offset:608
	;; [unrolled: 1-line block ×8, first 2 shown]
	s_waitcnt lgkmcnt(6)
	;;#ASMSTART
	v_dot2_f32_f16 v82, v24, v28, v82
	;;#ASMEND
	;;#ASMSTART
	v_dot2_f32_f16 v82, v25, v29, v82
	;;#ASMEND
	;;#ASMSTART
	v_dot2_f32_f16 v82, v26, v30, v82
	;;#ASMEND
	;;#ASMSTART
	v_dot2_f32_f16 v82, v27, v31, v82
	;;#ASMEND
	s_waitcnt lgkmcnt(5)
	;;#ASMSTART
	v_dot2_f32_f16 v83, v24, v98, v83
	;;#ASMEND
	;;#ASMSTART
	v_dot2_f32_f16 v83, v25, v99, v83
	;;#ASMEND
	;;#ASMSTART
	v_dot2_f32_f16 v83, v26, v100, v83
	;;#ASMEND
	;;#ASMSTART
	v_dot2_f32_f16 v83, v27, v101, v83
	;;#ASMEND
	;; [unrolled: 13-line block ×5, first 2 shown]
	;;#ASMSTART
	v_dot2_f32_f16 v87, v110, v98, v87
	;;#ASMEND
	;;#ASMSTART
	v_dot2_f32_f16 v87, v111, v99, v87
	;;#ASMEND
	;; [unrolled: 3-line block ×12, first 2 shown]
	s_waitcnt lgkmcnt(1)
	;;#ASMSTART
	v_dot2_f32_f16 v90, v114, v28, v90
	;;#ASMEND
	;;#ASMSTART
	v_dot2_f32_f16 v90, v115, v29, v90
	;;#ASMEND
	;; [unrolled: 3-line block ×16, first 2 shown]
	s_waitcnt lgkmcnt(0)
	;;#ASMSTART
	v_dot2_f32_f16 v94, v118, v28, v94
	;;#ASMEND
	;;#ASMSTART
	v_dot2_f32_f16 v94, v119, v29, v94
	;;#ASMEND
	;; [unrolled: 3-line block ×16, first 2 shown]
	ds_read_b128 v[24:27], v49 offset:112
	ds_read_b128 v[28:31], v33 offset:624
	;; [unrolled: 1-line block ×8, first 2 shown]
	s_waitcnt lgkmcnt(6)
	;;#ASMSTART
	v_dot2_f32_f16 v82, v24, v28, v82
	;;#ASMEND
	;;#ASMSTART
	v_dot2_f32_f16 v82, v25, v29, v82
	;;#ASMEND
	;;#ASMSTART
	v_dot2_f32_f16 v82, v26, v30, v82
	;;#ASMEND
	;;#ASMSTART
	v_dot2_f32_f16 v82, v27, v31, v82
	;;#ASMEND
	s_waitcnt lgkmcnt(5)
	;;#ASMSTART
	v_dot2_f32_f16 v83, v24, v98, v83
	;;#ASMEND
	;;#ASMSTART
	v_dot2_f32_f16 v83, v25, v99, v83
	;;#ASMEND
	;;#ASMSTART
	v_dot2_f32_f16 v83, v26, v100, v83
	;;#ASMEND
	;;#ASMSTART
	v_dot2_f32_f16 v83, v27, v101, v83
	;;#ASMEND
	;; [unrolled: 13-line block ×5, first 2 shown]
	;;#ASMSTART
	v_dot2_f32_f16 v87, v110, v98, v87
	;;#ASMEND
	;;#ASMSTART
	v_dot2_f32_f16 v87, v111, v99, v87
	;;#ASMEND
	;; [unrolled: 3-line block ×9, first 2 shown]
	v_add_nc_u32_e32 v24, s9, v5
	;;#ASMSTART
	v_dot2_f32_f16 v89, v111, v107, v89
	;;#ASMEND
	;;#ASMSTART
	v_dot2_f32_f16 v89, v112, v108, v89
	;;#ASMEND
	;; [unrolled: 3-line block ×3, first 2 shown]
	s_waitcnt lgkmcnt(1)
	;;#ASMSTART
	v_dot2_f32_f16 v90, v114, v28, v90
	;;#ASMEND
	;;#ASMSTART
	v_dot2_f32_f16 v90, v115, v29, v90
	;;#ASMEND
	;; [unrolled: 3-line block ×3, first 2 shown]
	v_ashrrev_i32_e32 v25, 31, v24
	;;#ASMSTART
	v_dot2_f32_f16 v90, v117, v31, v90
	;;#ASMEND
	;;#ASMSTART
	v_dot2_f32_f16 v91, v114, v98, v91
	;;#ASMEND
	;; [unrolled: 3-line block ×7, first 2 shown]
	v_lshlrev_b64 v[24:25], 1, v[24:25]
	;;#ASMSTART
	v_dot2_f32_f16 v92, v116, v104, v92
	;;#ASMEND
	;;#ASMSTART
	v_dot2_f32_f16 v92, v117, v105, v92
	;;#ASMEND
	;; [unrolled: 3-line block ×6, first 2 shown]
	s_waitcnt lgkmcnt(0)
	;;#ASMSTART
	v_dot2_f32_f16 v94, v118, v28, v94
	;;#ASMEND
	;;#ASMSTART
	v_dot2_f32_f16 v94, v119, v29, v94
	;;#ASMEND
	v_add_co_u32 v24, vcc_lo, s34, v24
	;;#ASMSTART
	v_dot2_f32_f16 v94, v120, v30, v94
	;;#ASMEND
	;;#ASMSTART
	v_dot2_f32_f16 v94, v121, v31, v94
	;;#ASMEND
	;; [unrolled: 3-line block ×3, first 2 shown]
	v_add_co_ci_u32_e64 v25, null, s35, v25, vcc_lo
	v_add_co_u32 v26, vcc_lo, s24, v16
	;;#ASMSTART
	v_dot2_f32_f16 v95, v119, v99, v95
	;;#ASMEND
	;;#ASMSTART
	v_dot2_f32_f16 v95, v120, v100, v95
	;;#ASMEND
	v_add_co_ci_u32_e64 v27, null, s25, v17, vcc_lo
	;;#ASMSTART
	v_dot2_f32_f16 v95, v121, v101, v95
	;;#ASMEND
	;;#ASMSTART
	v_dot2_f32_f16 v96, v118, v102, v96
	;;#ASMEND
	;; [unrolled: 3-line block ×4, first 2 shown]
	v_add_co_u32 v26, vcc_lo, v26, v48
	;;#ASMSTART
	v_dot2_f32_f16 v96, v121, v105, v96
	;;#ASMEND
	;;#ASMSTART
	v_dot2_f32_f16 v97, v118, v106, v97
	;;#ASMEND
	;; [unrolled: 3-line block ×3, first 2 shown]
	v_add_co_ci_u32_e64 v27, null, 0, v27, vcc_lo
	;;#ASMSTART
	v_dot2_f32_f16 v97, v120, v108, v97
	;;#ASMEND
	;;#ASMSTART
	v_dot2_f32_f16 v97, v121, v109, v97
	;;#ASMEND
	s_clause 0x3
	global_load_ushort v28, v[24:25], off
	global_load_ushort v29, v[24:25], off offset:64
	global_load_ushort v30, v[24:25], off offset:128
	;; [unrolled: 1-line block ×3, first 2 shown]
	s_waitcnt vmcnt(0)
	s_barrier
	buffer_gl0_inv
	global_load_dwordx4 v[24:27], v[26:27], off
	v_mov_b32_e32 v100, v2
	v_mov_b32_e32 v101, v1
	;; [unrolled: 1-line block ×4, first 2 shown]
	v_cmp_gt_i32_e32 vcc_lo, 32, v39
	v_cvt_f32_f16_e32 v1, v28
	v_cvt_f32_f16_e32 v2, v29
	s_waitcnt vmcnt(0)
	ds_write_b128 v51, v[24:27]
	v_add_f32_e32 v24, v82, v1
	v_add_f32_e32 v82, v86, v2
	v_cvt_f32_f16_e32 v25, v31
	v_add_f32_e32 v31, v88, v2
	v_add_f32_e32 v3, 0x40051340, v24
	;; [unrolled: 1-line block ×3, first 2 shown]
	v_max3_f32 v3, v101, v3, v4
	v_cvt_f32_f16_e32 v4, v30
	v_add_f32_e32 v30, v87, v2
	v_add_f32_e32 v86, v90, v4
	v_add_f32_e32 v90, v94, v25
	v_add_f32_e32 v28, 0x40051340, v30
	v_add_f32_e32 v87, v91, v4
	v_add_f32_e32 v91, v95, v25
	v_add_f32_e32 v26, 0x40051340, v86
	v_add_f32_e32 v27, 0x40051340, v90
	v_add_f32_e32 v88, v92, v4
	v_add_f32_e32 v92, v96, v25
	v_add_f32_e32 v29, 0x40051340, v91
	v_max3_f32 v3, v3, v26, v27
	v_add_f32_e32 v26, v83, v1
	v_add_f32_e32 v83, 0x40051340, v31
	;; [unrolled: 1-line block ×3, first 2 shown]
	v_max3_f32 v27, v100, v27, v28
	v_add_f32_e32 v28, 0x40051340, v87
	v_max3_f32 v27, v27, v28, v29
	v_add_f32_e32 v28, v84, v1
	v_add_f32_e32 v84, 0x40051340, v92
	;; [unrolled: 1-line block ×3, first 2 shown]
	v_max3_f32 v29, v99, v29, v83
	v_add_f32_e32 v83, 0x40051340, v88
	v_max3_f32 v29, v29, v83, v84
	v_add_f32_e32 v83, v85, v1
	v_add_f32_e32 v84, v89, v2
	v_add_f32_e32 v89, v93, v4
	v_add_f32_e32 v93, v97, v25
	v_add_f32_e32 v1, 0x40051340, v83
	v_add_f32_e32 v2, 0x40051340, v84
	v_add_f32_e32 v4, 0x40051340, v93
	v_max3_f32 v1, v98, v1, v2
	v_add_f32_e32 v2, 0x40051340, v89
	v_max3_f32 v4, v1, v2, v4
	v_cndmask_b32_e32 v1, v34, v39, vcc_lo
	v_cmp_gt_i32_e32 vcc_lo, 32, v38
	v_lshlrev_b32_e32 v25, 2, v1
	ds_bpermute_b32 v1, v25, v3
	ds_bpermute_b32 v2, v25, v27
	s_waitcnt lgkmcnt(1)
	v_max_f32_e32 v1, v1, v1
	s_waitcnt lgkmcnt(0)
	v_max_f32_e32 v2, v2, v2
	v_max_f32_e32 v1, v3, v1
	v_cndmask_b32_e32 v3, v34, v38, vcc_lo
	v_max_f32_e32 v2, v27, v2
	v_cmp_gt_i32_e32 vcc_lo, 32, v37
	v_lshlrev_b32_e32 v27, 2, v3
	ds_bpermute_b32 v3, v27, v1
	s_waitcnt lgkmcnt(0)
	v_max_f32_e32 v3, v3, v3
	v_max_f32_e32 v1, v1, v3
	ds_bpermute_b32 v3, v27, v2
	s_waitcnt lgkmcnt(0)
	v_max_f32_e32 v3, v3, v3
	v_max_f32_e32 v2, v2, v3
	v_cndmask_b32_e32 v3, v34, v37, vcc_lo
	v_cmp_gt_i32_e32 vcc_lo, 32, v36
	v_lshlrev_b32_e32 v85, 2, v3
	ds_bpermute_b32 v3, v85, v1
	s_waitcnt lgkmcnt(0)
	v_max_f32_e32 v3, v3, v3
	v_max_f32_e32 v1, v1, v3
	ds_bpermute_b32 v3, v85, v2
	s_waitcnt lgkmcnt(0)
	v_max_f32_e32 v3, v3, v3
	v_max_f32_e32 v2, v2, v3
	v_cndmask_b32_e32 v3, v34, v36, vcc_lo
	;; [unrolled: 11-line block ×3, first 2 shown]
	v_lshlrev_b32_e32 v95, 2, v3
	ds_bpermute_b32 v3, v95, v1
	ds_bpermute_b32 v96, v95, v2
	s_waitcnt lgkmcnt(1)
	v_max_f32_e32 v3, v3, v3
	s_waitcnt lgkmcnt(0)
	v_max_f32_e32 v96, v96, v96
	v_max_f32_e32 v1, v1, v3
	ds_bpermute_b32 v3, v25, v29
	ds_bpermute_b32 v25, v25, v4
	v_max_f32_e32 v2, v2, v96
	v_sub_f32_e32 v24, v24, v1
	v_sub_f32_e32 v82, v82, v1
	;; [unrolled: 1-line block ×3, first 2 shown]
	v_cmp_ngt_f32_e32 vcc_lo, 0xc2ce8ed0, v24
	v_cmp_nlt_f32_e64 s0, 0x42b17218, v24
	s_waitcnt lgkmcnt(1)
	v_max_f32_e32 v3, v3, v3
	s_waitcnt lgkmcnt(0)
	v_max_f32_e32 v25, v25, v25
	v_max_f32_e32 v3, v29, v3
	v_max_f32_e32 v4, v4, v25
	ds_bpermute_b32 v29, v27, v3
	ds_bpermute_b32 v25, v27, v4
	s_waitcnt lgkmcnt(1)
	v_max_f32_e32 v29, v29, v29
	s_waitcnt lgkmcnt(0)
	v_max_f32_e32 v25, v25, v25
	v_max_f32_e32 v3, v3, v29
	v_max_f32_e32 v4, v4, v25
	ds_bpermute_b32 v29, v85, v3
	ds_bpermute_b32 v25, v85, v4
	;; [unrolled: 8-line block ×4, first 2 shown]
	s_waitcnt lgkmcnt(1)
	v_max_f32_e32 v29, v29, v29
	s_waitcnt lgkmcnt(0)
	v_max_f32_e32 v25, v25, v25
	v_max_f32_e32 v3, v3, v29
	;; [unrolled: 1-line block ×3, first 2 shown]
	v_mul_f32_e32 v25, 0x3fb8aa3b, v24
	v_fma_f32 v27, 0x3fb8aa3b, v24, -v25
	v_fmac_f32_e32 v27, 0x32a5705f, v24
	v_sub_f32_e32 v24, v26, v2
	v_mul_f32_e32 v26, 0x3fb8aa3b, v24
	v_cmp_ngt_f32_e64 s1, 0xc2ce8ed0, v24
	v_cmp_nlt_f32_e64 s2, 0x42b17218, v24
	v_fma_f32 v29, 0x3fb8aa3b, v24, -v26
	v_fmac_f32_e32 v29, 0x32a5705f, v24
	v_sub_f32_e32 v24, v28, v3
	v_mul_f32_e32 v28, 0x3fb8aa3b, v24
	v_cmp_ngt_f32_e64 s3, 0xc2ce8ed0, v24
	v_cmp_nlt_f32_e64 s6, 0x42b17218, v24
	;; [unrolled: 6-line block ×3, first 2 shown]
	v_fma_f32 v94, 0x3fb8aa3b, v24, -v83
	v_fmac_f32_e32 v94, 0x32a5705f, v24
	v_rndne_f32_e32 v24, v25
	v_sub_f32_e32 v25, v25, v24
	v_cvt_i32_f32_e32 v24, v24
	v_add_f32_e32 v25, v25, v27
	v_rndne_f32_e32 v27, v26
	v_exp_f32_e32 v25, v25
	v_sub_f32_e32 v26, v26, v27
	v_cvt_i32_f32_e32 v27, v27
	v_add_f32_e32 v26, v26, v29
	v_rndne_f32_e32 v29, v28
	v_ldexp_f32 v24, v25, v24
	v_exp_f32_e32 v26, v26
	v_sub_f32_e32 v28, v28, v29
	v_cvt_i32_f32_e32 v25, v29
	v_cndmask_b32_e32 v24, 0, v24, vcc_lo
	v_cmp_ngt_f32_e32 vcc_lo, 0xc2ce8ed0, v82
	v_add_f32_e32 v28, v28, v85
	v_rndne_f32_e32 v85, v83
	v_ldexp_f32 v26, v26, v27
	v_exp_f32_e32 v28, v28
	v_sub_f32_e32 v83, v83, v85
	v_add_f32_e32 v83, v83, v94
	v_ldexp_f32 v25, v28, v25
	v_exp_f32_e32 v29, v83
	v_cvt_i32_f32_e32 v28, v85
	v_cndmask_b32_e64 v83, 0, v26, s1
	v_cmp_ngt_f32_e64 s1, 0xc2ce8ed0, v30
	v_cndmask_b32_e64 v25, 0, v25, s3
	v_cndmask_b32_e64 v27, 0x7f800000, v25, s6
	v_ldexp_f32 v28, v29, v28
	v_cndmask_b32_e64 v29, 0x7f800000, v24, s0
	v_cmp_nlt_f32_e64 s0, 0x42b17218, v82
	v_cvt_f16_f32_e32 v24, v27
	v_cndmask_b32_e64 v28, 0, v28, s7
	v_cndmask_b32_e64 v26, 0x7f800000, v28, s8
	;; [unrolled: 1-line block ×3, first 2 shown]
	v_cmp_nlt_f32_e64 s2, 0x42b17218, v30
	v_cvt_f16_f32_e32 v25, v26
	v_cvt_f16_f32_e32 v83, v28
	v_pack_b32_f16 v25, v24, v25
	v_cvt_f16_f32_e32 v24, v29
	v_pack_b32_f16 v24, v24, v83
	v_mul_f32_e32 v83, 0x3fb8aa3b, v82
	v_fma_f32 v85, 0x3fb8aa3b, v82, -v83
	v_fmac_f32_e32 v85, 0x32a5705f, v82
	v_mul_f32_e32 v82, 0x3fb8aa3b, v30
	v_fma_f32 v94, 0x3fb8aa3b, v30, -v82
	v_fmac_f32_e32 v94, 0x32a5705f, v30
	v_sub_f32_e32 v30, v31, v3
	v_mul_f32_e32 v31, 0x3fb8aa3b, v30
	v_cmp_ngt_f32_e64 s3, 0xc2ce8ed0, v30
	v_cmp_nlt_f32_e64 s6, 0x42b17218, v30
	v_fma_f32 v95, 0x3fb8aa3b, v30, -v31
	v_fmac_f32_e32 v95, 0x32a5705f, v30
	v_sub_f32_e32 v30, v84, v4
	v_mul_f32_e32 v84, 0x3fb8aa3b, v30
	v_cmp_ngt_f32_e64 s7, 0xc2ce8ed0, v30
	v_cmp_nlt_f32_e64 s8, 0x42b17218, v30
	v_fma_f32 v96, 0x3fb8aa3b, v30, -v84
	v_fmac_f32_e32 v96, 0x32a5705f, v30
	v_rndne_f32_e32 v30, v83
	v_sub_f32_e32 v83, v83, v30
	v_cvt_i32_f32_e32 v30, v30
	v_add_f32_e32 v83, v83, v85
	v_rndne_f32_e32 v85, v82
	v_exp_f32_e32 v83, v83
	v_sub_f32_e32 v82, v82, v85
	v_add_f32_e32 v82, v82, v94
	v_rndne_f32_e32 v94, v31
	v_ldexp_f32 v30, v83, v30
	v_exp_f32_e32 v82, v82
	v_sub_f32_e32 v31, v31, v94
	v_cvt_i32_f32_e32 v83, v94
	v_add_f32_e32 v31, v31, v95
	v_rndne_f32_e32 v95, v84
	v_exp_f32_e32 v31, v31
	v_sub_f32_e32 v84, v84, v95
	v_add_f32_e32 v84, v84, v96
	v_ldexp_f32 v31, v31, v83
	v_exp_f32_e32 v84, v84
	v_cvt_i32_f32_e32 v83, v95
	v_cndmask_b32_e64 v31, 0, v31, s3
	v_cndmask_b32_e64 v31, 0x7f800000, v31, s6
	v_ldexp_f32 v83, v84, v83
	v_cvt_i32_f32_e32 v84, v85
	v_cndmask_b32_e64 v83, 0, v83, s7
	v_ldexp_f32 v82, v82, v84
	v_cndmask_b32_e32 v84, 0, v30, vcc_lo
	v_cndmask_b32_e64 v30, 0x7f800000, v83, s8
	v_cndmask_b32_e64 v82, 0, v82, s1
	;; [unrolled: 1-line block ×3, first 2 shown]
	v_cvt_f16_f32_e32 v84, v31
	v_cvt_f16_f32_e32 v85, v30
	v_cndmask_b32_e64 v82, 0x7f800000, v82, s2
	v_pack_b32_f16 v85, v84, v85
	v_cvt_f16_f32_e32 v84, v83
	v_cvt_f16_f32_e32 v94, v82
	v_pack_b32_f16 v84, v84, v94
	ds_write2_b64 v56, v[24:25], v[84:85] offset1:32
	v_sub_f32_e32 v24, v86, v1
	v_mul_f32_e32 v25, 0x3fb8aa3b, v24
	v_cmp_ngt_f32_e32 vcc_lo, 0xc2ce8ed0, v24
	v_cmp_nlt_f32_e64 s0, 0x42b17218, v24
	v_fma_f32 v84, 0x3fb8aa3b, v24, -v25
	v_fmac_f32_e32 v84, 0x32a5705f, v24
	v_sub_f32_e32 v24, v87, v2
	v_mul_f32_e32 v85, 0x3fb8aa3b, v24
	v_cmp_ngt_f32_e64 s1, 0xc2ce8ed0, v24
	v_cmp_nlt_f32_e64 s2, 0x42b17218, v24
	v_fma_f32 v86, 0x3fb8aa3b, v24, -v85
	v_fmac_f32_e32 v86, 0x32a5705f, v24
	v_sub_f32_e32 v24, v88, v3
	v_mul_f32_e32 v87, 0x3fb8aa3b, v24
	v_cmp_ngt_f32_e64 s3, 0xc2ce8ed0, v24
	;; [unrolled: 6-line block ×3, first 2 shown]
	v_cmp_nlt_f32_e64 s8, 0x42b17218, v24
	v_fma_f32 v94, 0x3fb8aa3b, v24, -v89
	v_fmac_f32_e32 v94, 0x32a5705f, v24
	v_rndne_f32_e32 v24, v25
	v_sub_f32_e32 v25, v25, v24
	v_cvt_i32_f32_e32 v24, v24
	v_add_f32_e32 v25, v25, v84
	v_rndne_f32_e32 v84, v85
	v_exp_f32_e32 v25, v25
	v_sub_f32_e32 v85, v85, v84
	v_cvt_i32_f32_e32 v84, v84
	v_add_f32_e32 v85, v85, v86
	v_rndne_f32_e32 v86, v87
	v_ldexp_f32 v24, v25, v24
	v_exp_f32_e32 v85, v85
	v_sub_f32_e32 v87, v87, v86
	v_cvt_i32_f32_e32 v25, v86
	v_cndmask_b32_e32 v24, 0, v24, vcc_lo
	v_add_f32_e32 v87, v87, v88
	v_rndne_f32_e32 v88, v89
	v_ldexp_f32 v84, v85, v84
	v_exp_f32_e32 v86, v87
	v_sub_f32_e32 v89, v89, v88
	v_add_f32_e32 v89, v89, v94
	v_ldexp_f32 v25, v86, v25
	v_exp_f32_e32 v87, v89
	v_cvt_i32_f32_e32 v86, v88
	v_cndmask_b32_e64 v88, 0, v84, s1
	v_cndmask_b32_e64 v25, 0, v25, s3
	v_cndmask_b32_e64 v85, 0x7f800000, v25, s6
	v_ldexp_f32 v86, v87, v86
	v_cndmask_b32_e64 v87, 0x7f800000, v24, s0
	v_cvt_f16_f32_e32 v24, v85
	v_cndmask_b32_e64 v86, 0, v86, s7
	v_cndmask_b32_e64 v84, 0x7f800000, v86, s8
	;; [unrolled: 1-line block ×3, first 2 shown]
	v_cvt_f16_f32_e32 v25, v84
	v_cvt_f16_f32_e32 v88, v86
	v_pack_b32_f16 v25, v24, v25
	v_cvt_f16_f32_e32 v24, v87
	v_pack_b32_f16 v24, v24, v88
	v_sub_f32_e32 v88, v90, v1
	v_mul_f32_e32 v89, 0x3fb8aa3b, v88
	v_cmp_ngt_f32_e32 vcc_lo, 0xc2ce8ed0, v88
	v_cmp_nlt_f32_e64 s0, 0x42b17218, v88
	v_fma_f32 v90, 0x3fb8aa3b, v88, -v89
	v_fmac_f32_e32 v90, 0x32a5705f, v88
	v_sub_f32_e32 v88, v91, v2
	v_mul_f32_e32 v91, 0x3fb8aa3b, v88
	v_cmp_ngt_f32_e64 s1, 0xc2ce8ed0, v88
	v_cmp_nlt_f32_e64 s2, 0x42b17218, v88
	v_fma_f32 v94, 0x3fb8aa3b, v88, -v91
	v_fmac_f32_e32 v94, 0x32a5705f, v88
	v_sub_f32_e32 v88, v92, v3
	v_mul_f32_e32 v92, 0x3fb8aa3b, v88
	v_cmp_ngt_f32_e64 s3, 0xc2ce8ed0, v88
	;; [unrolled: 6-line block ×3, first 2 shown]
	v_cmp_nlt_f32_e64 s8, 0x42b17218, v88
	v_fma_f32 v96, 0x3fb8aa3b, v88, -v93
	v_fmac_f32_e32 v96, 0x32a5705f, v88
	v_rndne_f32_e32 v88, v89
	v_sub_f32_e32 v89, v89, v88
	v_cvt_i32_f32_e32 v88, v88
	v_add_f32_e32 v89, v89, v90
	v_rndne_f32_e32 v90, v91
	v_exp_f32_e32 v89, v89
	v_sub_f32_e32 v91, v91, v90
	v_cvt_i32_f32_e32 v90, v90
	v_add_f32_e32 v91, v91, v94
	v_rndne_f32_e32 v94, v92
	v_ldexp_f32 v88, v89, v88
	v_exp_f32_e32 v91, v91
	v_sub_f32_e32 v92, v92, v94
	v_cvt_i32_f32_e32 v89, v94
	v_add_f32_e32 v92, v92, v95
	v_rndne_f32_e32 v95, v93
	v_ldexp_f32 v90, v91, v90
	v_exp_f32_e32 v92, v92
	v_sub_f32_e32 v93, v93, v95
	v_cndmask_b32_e64 v90, 0, v90, s1
	v_add_f32_e32 v93, v93, v96
	v_cndmask_b32_e64 v90, 0x7f800000, v90, s2
	v_ldexp_f32 v89, v92, v89
	v_exp_f32_e32 v93, v93
	v_cvt_i32_f32_e32 v92, v95
	v_cvt_f16_f32_e32 v94, v90
	v_cndmask_b32_e64 v89, 0, v89, s3
	v_cndmask_b32_e64 v89, 0x7f800000, v89, s6
	v_ldexp_f32 v92, v93, v92
	v_cndmask_b32_e64 v91, 0, v92, s7
	v_cndmask_b32_e32 v92, 0, v88, vcc_lo
	v_cndmask_b32_e64 v88, 0x7f800000, v91, s8
	v_cndmask_b32_e64 v91, 0x7f800000, v92, s0
	v_cvt_f16_f32_e32 v92, v89
	v_cvt_f16_f32_e32 v93, v88
	v_pack_b32_f16 v93, v92, v93
	v_cvt_f16_f32_e32 v92, v91
	v_pack_b32_f16 v92, v92, v94
	ds_write2_b64 v56, v[24:25], v[92:93] offset0:64 offset1:96
	v_add_co_u32 v24, vcc_lo, s24, v18
	v_add_co_ci_u32_e64 v25, null, s25, v19, vcc_lo
	v_add_co_u32 v24, vcc_lo, v24, v48
	v_add_co_ci_u32_e64 v25, null, 0, v25, vcc_lo
	global_load_dwordx4 v[92:95], v[24:25], off
	v_add_co_u32 v24, vcc_lo, s24, v20
	v_add_co_ci_u32_e64 v25, null, s25, v21, vcc_lo
	v_add_co_u32 v24, vcc_lo, v24, v48
	v_add_co_ci_u32_e64 v25, null, 0, v25, vcc_lo
	s_waitcnt vmcnt(0)
	ds_write_b128 v52, v[92:95]
	global_load_dwordx4 v[92:95], v[24:25], off
	v_add_co_u32 v24, vcc_lo, s24, v22
	v_add_co_ci_u32_e64 v25, null, s25, v23, vcc_lo
	v_add_co_u32 v24, vcc_lo, v24, v48
	v_add_co_ci_u32_e64 v25, null, 0, v25, vcc_lo
	s_waitcnt vmcnt(0)
	ds_write_b128 v53, v[92:95]
	global_load_dwordx4 v[92:95], v[24:25], off
	v_sub_f32_e32 v24, v101, v1
	v_mul_f32_e32 v25, 0x3fb8aa3b, v24
	v_cmp_ngt_f32_e32 vcc_lo, 0xc2ce8ed0, v24
	v_cmp_nlt_f32_e64 s0, 0x42b17218, v24
	s_waitcnt vmcnt(0)
	ds_write_b128 v54, v[92:95]
	v_fma_f32 v92, 0x3fb8aa3b, v24, -v25
	s_waitcnt lgkmcnt(0)
	s_barrier
	buffer_gl0_inv
	v_fmac_f32_e32 v92, 0x32a5705f, v24
	v_sub_f32_e32 v24, v100, v2
	v_mul_f32_e32 v93, 0x3fb8aa3b, v24
	v_cmp_ngt_f32_e64 s1, 0xc2ce8ed0, v24
	v_cmp_nlt_f32_e64 s2, 0x42b17218, v24
	v_fma_f32 v94, 0x3fb8aa3b, v24, -v93
	v_fmac_f32_e32 v94, 0x32a5705f, v24
	v_sub_f32_e32 v24, v99, v3
	v_mul_f32_e32 v95, 0x3fb8aa3b, v24
	v_cmp_ngt_f32_e64 s3, 0xc2ce8ed0, v24
	v_cmp_nlt_f32_e64 s6, 0x42b17218, v24
	v_fma_f32 v96, 0x3fb8aa3b, v24, -v95
	;; [unrolled: 6-line block ×3, first 2 shown]
	v_fmac_f32_e32 v98, 0x32a5705f, v24
	v_rndne_f32_e32 v24, v25
	v_sub_f32_e32 v25, v25, v24
	v_cvt_i32_f32_e32 v24, v24
	v_add_f32_e32 v25, v25, v92
	v_rndne_f32_e32 v92, v93
	v_exp_f32_e32 v25, v25
	v_sub_f32_e32 v93, v93, v92
	v_add_f32_e32 v93, v93, v94
	v_rndne_f32_e32 v94, v95
	v_ldexp_f32 v24, v25, v24
	v_cvt_i32_f32_e32 v25, v92
	v_sub_f32_e32 v95, v95, v94
	v_exp_f32_e32 v92, v93
	v_cndmask_b32_e32 v24, 0, v24, vcc_lo
	v_add_f32_e32 v95, v95, v96
	v_rndne_f32_e32 v96, v97
	v_sub_f32_e32 v97, v97, v96
	v_ldexp_f32 v25, v92, v25
	v_cvt_i32_f32_e32 v92, v96
	v_add_f32_e32 v97, v97, v98
	v_cndmask_b32_e64 v25, 0, v25, s1
	v_exp_f32_e32 v93, v97
	ds_read2_b64 v[96:99], v58 offset1:32
	v_ldexp_f32 v92, v93, v92
	v_cvt_i32_f32_e32 v93, v94
	v_exp_f32_e32 v94, v95
	v_cndmask_b32_e64 v92, 0, v92, s7
	v_cndmask_b32_e64 v92, 0x7f800000, v92, s8
	v_ldexp_f32 v93, v94, v93
	v_cvt_f16_f32_e32 v94, v92
	v_cndmask_b32_e64 v93, 0, v93, s3
	v_mul_u32_u24_sdwa v94, v94, v57 dst_sel:DWORD dst_unused:UNUSED_PAD src0_sel:WORD_0 src1_sel:DWORD
	v_cndmask_b32_e64 v93, 0x7f800000, v93, s6
	v_pk_mul_f16 v95, v68, v94
	v_pk_mul_f16 v100, v69, v94
	;; [unrolled: 1-line block ×4, first 2 shown]
	ds_read_b128 v[66:69], v50
	v_cvt_f16_f32_e32 v104, v93
	v_mul_u32_u24_sdwa v104, v104, v57 dst_sel:DWORD dst_unused:UNUSED_PAD src0_sel:WORD_0 src1_sel:DWORD
	v_pk_mul_f16 v73, v73, v104
	v_pk_mul_f16 v70, v70, v104
	;; [unrolled: 1-line block ×3, first 2 shown]
	s_waitcnt lgkmcnt(0)
	v_mul_u32_u24_sdwa v102, v67, v57 dst_sel:DWORD dst_unused:UNUSED_PAD src0_sel:WORD_1 src1_sel:DWORD
	v_mul_u32_u24_sdwa v105, v66, v57 dst_sel:DWORD dst_unused:UNUSED_PAD src0_sel:WORD_0 src1_sel:DWORD
	v_mul_u32_u24_sdwa v66, v66, v57 dst_sel:DWORD dst_unused:UNUSED_PAD src0_sel:WORD_1 src1_sel:DWORD
	v_mul_u32_u24_sdwa v67, v67, v57 dst_sel:DWORD dst_unused:UNUSED_PAD src0_sel:WORD_0 src1_sel:DWORD
	v_pk_fma_f16 v103, v96, v102, v95
	v_pk_fma_f16 v100, v97, v102, v100
	;; [unrolled: 1-line block ×4, first 2 shown]
	v_cndmask_b32_e64 v94, 0x7f800000, v25, s2
	v_cndmask_b32_e64 v95, 0x7f800000, v24, s0
	v_pk_fma_f16 v73, v97, v67, v73
	v_pk_fma_f16 v70, v98, v67, v70
	;; [unrolled: 1-line block ×3, first 2 shown]
	v_cvt_f16_f32_e32 v25, v94
	v_cvt_f16_f32_e32 v24, v95
	v_pk_mul_f16 v67, v96, v67
	s_or_b32 s0, s9, 32
	v_mul_u32_u24_sdwa v25, v25, v57 dst_sel:DWORD dst_unused:UNUSED_PAD src0_sel:WORD_0 src1_sel:DWORD
	v_mul_u32_u24_sdwa v24, v24, v57 dst_sel:DWORD dst_unused:UNUSED_PAD src0_sel:WORD_0 src1_sel:DWORD
	v_pk_fma_f16 v72, v72, v104, v67
	s_mul_hi_i32 s1, s0, s14
	s_mul_i32 s0, s0, s14
	v_pk_mul_f16 v77, v77, v25
	v_pk_mul_f16 v74, v74, v25
	;; [unrolled: 1-line block ×6, first 2 shown]
	v_pk_fma_f16 v77, v97, v66, v77
	v_pk_fma_f16 v74, v98, v66, v74
	v_pk_fma_f16 v75, v99, v66, v75
	v_pk_mul_f16 v66, v96, v66
	v_pk_fma_f16 v81, v97, v105, v81
	v_pk_fma_f16 v79, v98, v105, v79
	;; [unrolled: 1-line block ×3, first 2 shown]
	v_pk_mul_f16 v105, v96, v105
	v_mul_u32_u24_sdwa v96, v68, v57 dst_sel:DWORD dst_unused:UNUSED_PAD src0_sel:WORD_0 src1_sel:DWORD
	v_mul_u32_u24_sdwa v97, v68, v57 dst_sel:DWORD dst_unused:UNUSED_PAD src0_sel:WORD_1 src1_sel:DWORD
	v_mul_u32_u24_sdwa v98, v69, v57 dst_sel:DWORD dst_unused:UNUSED_PAD src0_sel:WORD_0 src1_sel:DWORD
	v_mul_u32_u24_sdwa v99, v69, v57 dst_sel:DWORD dst_unused:UNUSED_PAD src0_sel:WORD_1 src1_sel:DWORD
	v_pk_fma_f16 v25, v76, v25, v66
	ds_read2_b64 v[66:69], v58 offset0:64 offset1:96
	v_pk_fma_f16 v24, v78, v24, v105
	s_lshl_b64 s[0:1], s[0:1], 2
	s_add_u32 s0, s12, s0
	s_addc_u32 s1, s13, s1
	s_waitcnt lgkmcnt(0)
	v_pk_fma_f16 v76, v66, v99, v103
	v_pk_fma_f16 v78, v67, v99, v100
	;; [unrolled: 1-line block ×16, first 2 shown]
	ds_read_b128 v[66:69], v50 offset:16
	ds_read2_b64 v[70:73], v58 offset0:128 offset1:160
	s_waitcnt lgkmcnt(1)
	v_mul_u32_u24_sdwa v102, v67, v57 dst_sel:DWORD dst_unused:UNUSED_PAD src0_sel:WORD_1 src1_sel:DWORD
	s_waitcnt lgkmcnt(0)
	v_pk_fma_f16 v76, v70, v102, v76
	v_pk_fma_f16 v78, v71, v102, v78
	;; [unrolled: 1-line block ×4, first 2 shown]
	v_mul_u32_u24_sdwa v102, v66, v57 dst_sel:DWORD dst_unused:UNUSED_PAD src0_sel:WORD_0 src1_sel:DWORD
	v_mul_u32_u24_sdwa v66, v66, v57 dst_sel:DWORD dst_unused:UNUSED_PAD src0_sel:WORD_1 src1_sel:DWORD
	v_pk_fma_f16 v81, v71, v102, v81
	v_pk_fma_f16 v77, v71, v66, v77
	;; [unrolled: 1-line block ×5, first 2 shown]
	v_mul_u32_u24_sdwa v66, v67, v57 dst_sel:DWORD dst_unused:UNUSED_PAD src0_sel:WORD_0 src1_sel:DWORD
	v_pk_fma_f16 v79, v72, v102, v79
	v_pk_fma_f16 v80, v73, v102, v80
	;; [unrolled: 1-line block ×7, first 2 shown]
	v_mul_u32_u24_sdwa v96, v68, v57 dst_sel:DWORD dst_unused:UNUSED_PAD src0_sel:WORD_0 src1_sel:DWORD
	v_mul_u32_u24_sdwa v97, v68, v57 dst_sel:DWORD dst_unused:UNUSED_PAD src0_sel:WORD_1 src1_sel:DWORD
	v_mul_u32_u24_sdwa v98, v69, v57 dst_sel:DWORD dst_unused:UNUSED_PAD src0_sel:WORD_0 src1_sel:DWORD
	v_mul_u32_u24_sdwa v101, v69, v57 dst_sel:DWORD dst_unused:UNUSED_PAD src0_sel:WORD_1 src1_sel:DWORD
	ds_read2_b64 v[66:69], v58 offset0:192 offset1:224
	s_waitcnt lgkmcnt(0)
	v_pk_fma_f16 v76, v66, v101, v76
	v_pk_fma_f16 v78, v67, v101, v78
	;; [unrolled: 1-line block ×16, first 2 shown]
	ds_read_b128 v[66:69], v50 offset:32
	ds_read2_b64 v[70:73], v59 offset1:32
	s_waitcnt lgkmcnt(1)
	v_mul_u32_u24_sdwa v102, v67, v57 dst_sel:DWORD dst_unused:UNUSED_PAD src0_sel:WORD_1 src1_sel:DWORD
	s_waitcnt lgkmcnt(0)
	v_pk_fma_f16 v76, v70, v102, v76
	v_pk_fma_f16 v78, v71, v102, v78
	;; [unrolled: 1-line block ×4, first 2 shown]
	v_mul_u32_u24_sdwa v102, v66, v57 dst_sel:DWORD dst_unused:UNUSED_PAD src0_sel:WORD_0 src1_sel:DWORD
	v_mul_u32_u24_sdwa v66, v66, v57 dst_sel:DWORD dst_unused:UNUSED_PAD src0_sel:WORD_1 src1_sel:DWORD
	v_pk_fma_f16 v81, v71, v102, v81
	v_pk_fma_f16 v77, v71, v66, v77
	;; [unrolled: 1-line block ×5, first 2 shown]
	v_mul_u32_u24_sdwa v66, v67, v57 dst_sel:DWORD dst_unused:UNUSED_PAD src0_sel:WORD_0 src1_sel:DWORD
	v_pk_fma_f16 v79, v72, v102, v79
	v_pk_fma_f16 v80, v73, v102, v80
	;; [unrolled: 1-line block ×7, first 2 shown]
	v_mul_u32_u24_sdwa v96, v68, v57 dst_sel:DWORD dst_unused:UNUSED_PAD src0_sel:WORD_0 src1_sel:DWORD
	v_mul_u32_u24_sdwa v97, v68, v57 dst_sel:DWORD dst_unused:UNUSED_PAD src0_sel:WORD_1 src1_sel:DWORD
	v_mul_u32_u24_sdwa v98, v69, v57 dst_sel:DWORD dst_unused:UNUSED_PAD src0_sel:WORD_0 src1_sel:DWORD
	v_mul_u32_u24_sdwa v101, v69, v57 dst_sel:DWORD dst_unused:UNUSED_PAD src0_sel:WORD_1 src1_sel:DWORD
	ds_read2_b64 v[66:69], v59 offset0:64 offset1:96
	s_waitcnt lgkmcnt(0)
	v_pk_fma_f16 v76, v66, v101, v76
	v_pk_fma_f16 v78, v67, v101, v78
	;; [unrolled: 1-line block ×16, first 2 shown]
	ds_read_b128 v[66:69], v50 offset:48
	ds_read2_b64 v[70:73], v59 offset0:128 offset1:160
	s_waitcnt lgkmcnt(1)
	v_mul_u32_u24_sdwa v102, v67, v57 dst_sel:DWORD dst_unused:UNUSED_PAD src0_sel:WORD_1 src1_sel:DWORD
	s_waitcnt lgkmcnt(0)
	v_pk_fma_f16 v76, v70, v102, v76
	v_pk_fma_f16 v78, v71, v102, v78
	;; [unrolled: 1-line block ×4, first 2 shown]
	v_mul_u32_u24_sdwa v102, v66, v57 dst_sel:DWORD dst_unused:UNUSED_PAD src0_sel:WORD_0 src1_sel:DWORD
	v_mul_u32_u24_sdwa v66, v66, v57 dst_sel:DWORD dst_unused:UNUSED_PAD src0_sel:WORD_1 src1_sel:DWORD
	v_pk_fma_f16 v81, v71, v102, v81
	v_pk_fma_f16 v77, v71, v66, v77
	;; [unrolled: 1-line block ×5, first 2 shown]
	v_mul_u32_u24_sdwa v66, v67, v57 dst_sel:DWORD dst_unused:UNUSED_PAD src0_sel:WORD_0 src1_sel:DWORD
	v_pk_fma_f16 v79, v72, v102, v79
	v_pk_fma_f16 v80, v73, v102, v80
	;; [unrolled: 1-line block ×7, first 2 shown]
	v_mul_u32_u24_sdwa v96, v68, v57 dst_sel:DWORD dst_unused:UNUSED_PAD src0_sel:WORD_0 src1_sel:DWORD
	v_mul_u32_u24_sdwa v97, v68, v57 dst_sel:DWORD dst_unused:UNUSED_PAD src0_sel:WORD_1 src1_sel:DWORD
	v_mul_u32_u24_sdwa v98, v69, v57 dst_sel:DWORD dst_unused:UNUSED_PAD src0_sel:WORD_0 src1_sel:DWORD
	v_mul_u32_u24_sdwa v101, v69, v57 dst_sel:DWORD dst_unused:UNUSED_PAD src0_sel:WORD_1 src1_sel:DWORD
	ds_read2_b64 v[66:69], v59 offset0:192 offset1:224
	s_waitcnt lgkmcnt(0)
	v_pk_fma_f16 v76, v66, v101, v76
	v_pk_fma_f16 v78, v67, v101, v78
	;; [unrolled: 1-line block ×16, first 2 shown]
	ds_read_b128 v[66:69], v50 offset:64
	ds_read2_b64 v[70:73], v60 offset1:32
	s_waitcnt lgkmcnt(1)
	v_mul_u32_u24_sdwa v102, v67, v57 dst_sel:DWORD dst_unused:UNUSED_PAD src0_sel:WORD_1 src1_sel:DWORD
	s_waitcnt lgkmcnt(0)
	v_pk_fma_f16 v76, v70, v102, v76
	v_pk_fma_f16 v78, v71, v102, v78
	;; [unrolled: 1-line block ×4, first 2 shown]
	v_mul_u32_u24_sdwa v102, v66, v57 dst_sel:DWORD dst_unused:UNUSED_PAD src0_sel:WORD_0 src1_sel:DWORD
	v_mul_u32_u24_sdwa v66, v66, v57 dst_sel:DWORD dst_unused:UNUSED_PAD src0_sel:WORD_1 src1_sel:DWORD
	v_pk_fma_f16 v81, v71, v102, v81
	v_pk_fma_f16 v77, v71, v66, v77
	v_pk_fma_f16 v74, v72, v66, v74
	v_pk_fma_f16 v75, v73, v66, v75
	v_pk_fma_f16 v25, v70, v66, v25
	v_mul_u32_u24_sdwa v66, v67, v57 dst_sel:DWORD dst_unused:UNUSED_PAD src0_sel:WORD_0 src1_sel:DWORD
	v_pk_fma_f16 v79, v72, v102, v79
	v_pk_fma_f16 v80, v73, v102, v80
	;; [unrolled: 1-line block ×7, first 2 shown]
	v_mul_u32_u24_sdwa v96, v68, v57 dst_sel:DWORD dst_unused:UNUSED_PAD src0_sel:WORD_0 src1_sel:DWORD
	v_mul_u32_u24_sdwa v97, v68, v57 dst_sel:DWORD dst_unused:UNUSED_PAD src0_sel:WORD_1 src1_sel:DWORD
	v_mul_u32_u24_sdwa v98, v69, v57 dst_sel:DWORD dst_unused:UNUSED_PAD src0_sel:WORD_0 src1_sel:DWORD
	v_mul_u32_u24_sdwa v101, v69, v57 dst_sel:DWORD dst_unused:UNUSED_PAD src0_sel:WORD_1 src1_sel:DWORD
	ds_read2_b64 v[66:69], v60 offset0:64 offset1:96
	s_waitcnt lgkmcnt(0)
	v_pk_fma_f16 v76, v66, v101, v76
	v_pk_fma_f16 v78, v67, v101, v78
	;; [unrolled: 1-line block ×16, first 2 shown]
	ds_read_b128 v[66:69], v50 offset:80
	ds_read2_b64 v[70:73], v60 offset0:128 offset1:160
	s_waitcnt lgkmcnt(1)
	v_mul_u32_u24_sdwa v102, v67, v57 dst_sel:DWORD dst_unused:UNUSED_PAD src0_sel:WORD_1 src1_sel:DWORD
	s_waitcnt lgkmcnt(0)
	v_pk_fma_f16 v76, v70, v102, v76
	v_pk_fma_f16 v78, v71, v102, v78
	;; [unrolled: 1-line block ×4, first 2 shown]
	v_mul_u32_u24_sdwa v102, v66, v57 dst_sel:DWORD dst_unused:UNUSED_PAD src0_sel:WORD_0 src1_sel:DWORD
	v_mul_u32_u24_sdwa v66, v66, v57 dst_sel:DWORD dst_unused:UNUSED_PAD src0_sel:WORD_1 src1_sel:DWORD
	v_pk_fma_f16 v81, v71, v102, v81
	v_pk_fma_f16 v77, v71, v66, v77
	;; [unrolled: 1-line block ×5, first 2 shown]
	v_mul_u32_u24_sdwa v66, v67, v57 dst_sel:DWORD dst_unused:UNUSED_PAD src0_sel:WORD_0 src1_sel:DWORD
	v_pk_fma_f16 v79, v72, v102, v79
	v_pk_fma_f16 v80, v73, v102, v80
	v_pk_fma_f16 v24, v70, v102, v24
	v_pk_fma_f16 v71, v71, v66, v96
	v_pk_fma_f16 v72, v72, v66, v97
	v_pk_fma_f16 v73, v73, v66, v101
	v_pk_fma_f16 v70, v70, v66, v98
	v_mul_u32_u24_sdwa v96, v68, v57 dst_sel:DWORD dst_unused:UNUSED_PAD src0_sel:WORD_0 src1_sel:DWORD
	v_mul_u32_u24_sdwa v97, v68, v57 dst_sel:DWORD dst_unused:UNUSED_PAD src0_sel:WORD_1 src1_sel:DWORD
	v_mul_u32_u24_sdwa v98, v69, v57 dst_sel:DWORD dst_unused:UNUSED_PAD src0_sel:WORD_0 src1_sel:DWORD
	v_mul_u32_u24_sdwa v101, v69, v57 dst_sel:DWORD dst_unused:UNUSED_PAD src0_sel:WORD_1 src1_sel:DWORD
	ds_read2_b64 v[66:69], v60 offset0:192 offset1:224
	s_waitcnt lgkmcnt(0)
	v_pk_fma_f16 v76, v66, v101, v76
	v_pk_fma_f16 v78, v67, v101, v78
	;; [unrolled: 1-line block ×16, first 2 shown]
	ds_read_b128 v[66:69], v50 offset:96
	ds_read2_b64 v[70:73], v61 offset1:32
	s_waitcnt lgkmcnt(1)
	v_mul_u32_u24_sdwa v102, v67, v57 dst_sel:DWORD dst_unused:UNUSED_PAD src0_sel:WORD_1 src1_sel:DWORD
	s_waitcnt lgkmcnt(0)
	v_pk_fma_f16 v76, v70, v102, v76
	v_pk_fma_f16 v78, v71, v102, v78
	;; [unrolled: 1-line block ×4, first 2 shown]
	v_mul_u32_u24_sdwa v102, v66, v57 dst_sel:DWORD dst_unused:UNUSED_PAD src0_sel:WORD_0 src1_sel:DWORD
	v_mul_u32_u24_sdwa v66, v66, v57 dst_sel:DWORD dst_unused:UNUSED_PAD src0_sel:WORD_1 src1_sel:DWORD
	v_pk_fma_f16 v81, v71, v102, v81
	v_pk_fma_f16 v77, v71, v66, v77
	;; [unrolled: 1-line block ×5, first 2 shown]
	v_mul_u32_u24_sdwa v66, v67, v57 dst_sel:DWORD dst_unused:UNUSED_PAD src0_sel:WORD_0 src1_sel:DWORD
	v_pk_fma_f16 v79, v72, v102, v79
	v_pk_fma_f16 v80, v73, v102, v80
	;; [unrolled: 1-line block ×7, first 2 shown]
	v_mul_u32_u24_sdwa v96, v68, v57 dst_sel:DWORD dst_unused:UNUSED_PAD src0_sel:WORD_0 src1_sel:DWORD
	v_mul_u32_u24_sdwa v97, v68, v57 dst_sel:DWORD dst_unused:UNUSED_PAD src0_sel:WORD_1 src1_sel:DWORD
	v_mul_u32_u24_sdwa v98, v69, v57 dst_sel:DWORD dst_unused:UNUSED_PAD src0_sel:WORD_0 src1_sel:DWORD
	v_mul_u32_u24_sdwa v101, v69, v57 dst_sel:DWORD dst_unused:UNUSED_PAD src0_sel:WORD_1 src1_sel:DWORD
	ds_read2_b64 v[66:69], v61 offset0:64 offset1:96
	s_waitcnt lgkmcnt(0)
	v_pk_fma_f16 v76, v66, v101, v76
	v_pk_fma_f16 v78, v67, v101, v78
	v_pk_fma_f16 v100, v68, v101, v100
	v_pk_fma_f16 v99, v69, v101, v99
	v_pk_fma_f16 v81, v67, v96, v81
	v_pk_fma_f16 v79, v68, v96, v79
	v_pk_fma_f16 v80, v69, v96, v80
	v_pk_fma_f16 v24, v66, v96, v24
	v_pk_fma_f16 v77, v67, v97, v77
	v_pk_fma_f16 v74, v68, v97, v74
	v_pk_fma_f16 v75, v69, v97, v75
	v_pk_fma_f16 v25, v66, v97, v25
	v_pk_fma_f16 v96, v67, v98, v71
	v_pk_fma_f16 v97, v68, v98, v72
	v_pk_fma_f16 v101, v69, v98, v73
	v_pk_fma_f16 v98, v66, v98, v70
	ds_read_b128 v[66:69], v50 offset:112
	ds_read2_b64 v[70:73], v61 offset0:128 offset1:160
	s_waitcnt lgkmcnt(1)
	v_mul_u32_u24_sdwa v102, v67, v57 dst_sel:DWORD dst_unused:UNUSED_PAD src0_sel:WORD_1 src1_sel:DWORD
	s_waitcnt lgkmcnt(0)
	v_pk_fma_f16 v76, v70, v102, v76
	v_pk_fma_f16 v78, v71, v102, v78
	v_pk_fma_f16 v100, v72, v102, v100
	v_pk_fma_f16 v99, v73, v102, v99
	v_mul_u32_u24_sdwa v102, v66, v57 dst_sel:DWORD dst_unused:UNUSED_PAD src0_sel:WORD_0 src1_sel:DWORD
	v_mul_u32_u24_sdwa v66, v66, v57 dst_sel:DWORD dst_unused:UNUSED_PAD src0_sel:WORD_1 src1_sel:DWORD
	v_pk_fma_f16 v81, v71, v102, v81
	v_pk_fma_f16 v77, v71, v66, v77
	;; [unrolled: 1-line block ×5, first 2 shown]
	v_mul_u32_u24_sdwa v66, v67, v57 dst_sel:DWORD dst_unused:UNUSED_PAD src0_sel:WORD_0 src1_sel:DWORD
	v_pk_fma_f16 v79, v72, v102, v79
	v_pk_fma_f16 v80, v73, v102, v80
	;; [unrolled: 1-line block ×7, first 2 shown]
	v_mul_u32_u24_sdwa v96, v68, v57 dst_sel:DWORD dst_unused:UNUSED_PAD src0_sel:WORD_0 src1_sel:DWORD
	v_mul_u32_u24_sdwa v97, v68, v57 dst_sel:DWORD dst_unused:UNUSED_PAD src0_sel:WORD_1 src1_sel:DWORD
	v_mul_u32_u24_sdwa v98, v69, v57 dst_sel:DWORD dst_unused:UNUSED_PAD src0_sel:WORD_0 src1_sel:DWORD
	v_mul_u32_u24_sdwa v101, v69, v57 dst_sel:DWORD dst_unused:UNUSED_PAD src0_sel:WORD_1 src1_sel:DWORD
	ds_read2_b64 v[66:69], v61 offset0:192 offset1:224
	s_waitcnt lgkmcnt(0)
	v_pk_fma_f16 v76, v66, v101, v76
	v_pk_fma_f16 v78, v67, v101, v78
	;; [unrolled: 1-line block ×16, first 2 shown]
	ds_read_b128 v[66:69], v50 offset:128
	ds_read2_b64 v[70:73], v62 offset1:32
	s_waitcnt lgkmcnt(1)
	v_mul_u32_u24_sdwa v102, v67, v57 dst_sel:DWORD dst_unused:UNUSED_PAD src0_sel:WORD_1 src1_sel:DWORD
	s_waitcnt lgkmcnt(0)
	v_pk_fma_f16 v76, v70, v102, v76
	v_pk_fma_f16 v78, v71, v102, v78
	;; [unrolled: 1-line block ×4, first 2 shown]
	v_mul_u32_u24_sdwa v102, v66, v57 dst_sel:DWORD dst_unused:UNUSED_PAD src0_sel:WORD_0 src1_sel:DWORD
	v_mul_u32_u24_sdwa v66, v66, v57 dst_sel:DWORD dst_unused:UNUSED_PAD src0_sel:WORD_1 src1_sel:DWORD
	v_pk_fma_f16 v81, v71, v102, v81
	v_pk_fma_f16 v77, v71, v66, v77
	;; [unrolled: 1-line block ×5, first 2 shown]
	v_mul_u32_u24_sdwa v66, v67, v57 dst_sel:DWORD dst_unused:UNUSED_PAD src0_sel:WORD_0 src1_sel:DWORD
	v_pk_fma_f16 v79, v72, v102, v79
	v_pk_fma_f16 v80, v73, v102, v80
	;; [unrolled: 1-line block ×7, first 2 shown]
	v_mul_u32_u24_sdwa v96, v68, v57 dst_sel:DWORD dst_unused:UNUSED_PAD src0_sel:WORD_0 src1_sel:DWORD
	v_mul_u32_u24_sdwa v97, v68, v57 dst_sel:DWORD dst_unused:UNUSED_PAD src0_sel:WORD_1 src1_sel:DWORD
	v_mul_u32_u24_sdwa v98, v69, v57 dst_sel:DWORD dst_unused:UNUSED_PAD src0_sel:WORD_0 src1_sel:DWORD
	v_mul_u32_u24_sdwa v101, v69, v57 dst_sel:DWORD dst_unused:UNUSED_PAD src0_sel:WORD_1 src1_sel:DWORD
	ds_read2_b64 v[66:69], v62 offset0:64 offset1:96
	s_waitcnt lgkmcnt(0)
	v_pk_fma_f16 v76, v66, v101, v76
	v_pk_fma_f16 v78, v67, v101, v78
	;; [unrolled: 1-line block ×16, first 2 shown]
	ds_read_b128 v[66:69], v50 offset:144
	ds_read2_b64 v[70:73], v62 offset0:128 offset1:160
	s_waitcnt lgkmcnt(1)
	v_mul_u32_u24_sdwa v102, v67, v57 dst_sel:DWORD dst_unused:UNUSED_PAD src0_sel:WORD_1 src1_sel:DWORD
	s_waitcnt lgkmcnt(0)
	v_pk_fma_f16 v76, v70, v102, v76
	v_pk_fma_f16 v78, v71, v102, v78
	;; [unrolled: 1-line block ×4, first 2 shown]
	v_mul_u32_u24_sdwa v102, v66, v57 dst_sel:DWORD dst_unused:UNUSED_PAD src0_sel:WORD_0 src1_sel:DWORD
	v_mul_u32_u24_sdwa v66, v66, v57 dst_sel:DWORD dst_unused:UNUSED_PAD src0_sel:WORD_1 src1_sel:DWORD
	v_pk_fma_f16 v81, v71, v102, v81
	v_pk_fma_f16 v77, v71, v66, v77
	v_pk_fma_f16 v74, v72, v66, v74
	v_pk_fma_f16 v75, v73, v66, v75
	v_pk_fma_f16 v25, v70, v66, v25
	v_mul_u32_u24_sdwa v66, v67, v57 dst_sel:DWORD dst_unused:UNUSED_PAD src0_sel:WORD_0 src1_sel:DWORD
	v_pk_fma_f16 v79, v72, v102, v79
	v_pk_fma_f16 v80, v73, v102, v80
	;; [unrolled: 1-line block ×7, first 2 shown]
	v_mul_u32_u24_sdwa v96, v68, v57 dst_sel:DWORD dst_unused:UNUSED_PAD src0_sel:WORD_0 src1_sel:DWORD
	v_mul_u32_u24_sdwa v97, v68, v57 dst_sel:DWORD dst_unused:UNUSED_PAD src0_sel:WORD_1 src1_sel:DWORD
	v_mul_u32_u24_sdwa v98, v69, v57 dst_sel:DWORD dst_unused:UNUSED_PAD src0_sel:WORD_0 src1_sel:DWORD
	v_mul_u32_u24_sdwa v101, v69, v57 dst_sel:DWORD dst_unused:UNUSED_PAD src0_sel:WORD_1 src1_sel:DWORD
	ds_read2_b64 v[66:69], v62 offset0:192 offset1:224
	s_waitcnt lgkmcnt(0)
	v_pk_fma_f16 v76, v66, v101, v76
	v_pk_fma_f16 v78, v67, v101, v78
	;; [unrolled: 1-line block ×16, first 2 shown]
	ds_read_b128 v[66:69], v50 offset:160
	ds_read2_b64 v[70:73], v63 offset1:32
	s_waitcnt lgkmcnt(1)
	v_mul_u32_u24_sdwa v102, v67, v57 dst_sel:DWORD dst_unused:UNUSED_PAD src0_sel:WORD_1 src1_sel:DWORD
	s_waitcnt lgkmcnt(0)
	v_pk_fma_f16 v76, v70, v102, v76
	v_pk_fma_f16 v78, v71, v102, v78
	;; [unrolled: 1-line block ×4, first 2 shown]
	v_mul_u32_u24_sdwa v102, v66, v57 dst_sel:DWORD dst_unused:UNUSED_PAD src0_sel:WORD_0 src1_sel:DWORD
	v_mul_u32_u24_sdwa v66, v66, v57 dst_sel:DWORD dst_unused:UNUSED_PAD src0_sel:WORD_1 src1_sel:DWORD
	v_pk_fma_f16 v81, v71, v102, v81
	v_pk_fma_f16 v77, v71, v66, v77
	;; [unrolled: 1-line block ×5, first 2 shown]
	v_mul_u32_u24_sdwa v66, v67, v57 dst_sel:DWORD dst_unused:UNUSED_PAD src0_sel:WORD_0 src1_sel:DWORD
	v_pk_fma_f16 v79, v72, v102, v79
	v_pk_fma_f16 v80, v73, v102, v80
	;; [unrolled: 1-line block ×7, first 2 shown]
	v_mul_u32_u24_sdwa v96, v68, v57 dst_sel:DWORD dst_unused:UNUSED_PAD src0_sel:WORD_0 src1_sel:DWORD
	v_mul_u32_u24_sdwa v97, v68, v57 dst_sel:DWORD dst_unused:UNUSED_PAD src0_sel:WORD_1 src1_sel:DWORD
	v_mul_u32_u24_sdwa v98, v69, v57 dst_sel:DWORD dst_unused:UNUSED_PAD src0_sel:WORD_0 src1_sel:DWORD
	v_mul_u32_u24_sdwa v101, v69, v57 dst_sel:DWORD dst_unused:UNUSED_PAD src0_sel:WORD_1 src1_sel:DWORD
	ds_read2_b64 v[66:69], v63 offset0:64 offset1:96
	s_waitcnt lgkmcnt(0)
	v_pk_fma_f16 v76, v66, v101, v76
	v_pk_fma_f16 v78, v67, v101, v78
	;; [unrolled: 1-line block ×16, first 2 shown]
	ds_read_b128 v[66:69], v50 offset:176
	ds_read2_b64 v[70:73], v63 offset0:128 offset1:160
	s_waitcnt lgkmcnt(1)
	v_mul_u32_u24_sdwa v102, v67, v57 dst_sel:DWORD dst_unused:UNUSED_PAD src0_sel:WORD_1 src1_sel:DWORD
	s_waitcnt lgkmcnt(0)
	v_pk_fma_f16 v76, v70, v102, v76
	v_pk_fma_f16 v78, v71, v102, v78
	;; [unrolled: 1-line block ×4, first 2 shown]
	v_mul_u32_u24_sdwa v102, v66, v57 dst_sel:DWORD dst_unused:UNUSED_PAD src0_sel:WORD_0 src1_sel:DWORD
	v_mul_u32_u24_sdwa v66, v66, v57 dst_sel:DWORD dst_unused:UNUSED_PAD src0_sel:WORD_1 src1_sel:DWORD
	v_pk_fma_f16 v81, v71, v102, v81
	v_pk_fma_f16 v77, v71, v66, v77
	;; [unrolled: 1-line block ×5, first 2 shown]
	v_mul_u32_u24_sdwa v66, v67, v57 dst_sel:DWORD dst_unused:UNUSED_PAD src0_sel:WORD_0 src1_sel:DWORD
	v_pk_fma_f16 v79, v72, v102, v79
	v_pk_fma_f16 v80, v73, v102, v80
	;; [unrolled: 1-line block ×7, first 2 shown]
	v_mul_u32_u24_sdwa v96, v68, v57 dst_sel:DWORD dst_unused:UNUSED_PAD src0_sel:WORD_0 src1_sel:DWORD
	v_mul_u32_u24_sdwa v97, v68, v57 dst_sel:DWORD dst_unused:UNUSED_PAD src0_sel:WORD_1 src1_sel:DWORD
	v_mul_u32_u24_sdwa v98, v69, v57 dst_sel:DWORD dst_unused:UNUSED_PAD src0_sel:WORD_0 src1_sel:DWORD
	v_mul_u32_u24_sdwa v101, v69, v57 dst_sel:DWORD dst_unused:UNUSED_PAD src0_sel:WORD_1 src1_sel:DWORD
	ds_read2_b64 v[66:69], v63 offset0:192 offset1:224
	s_waitcnt lgkmcnt(0)
	v_pk_fma_f16 v76, v66, v101, v76
	v_pk_fma_f16 v78, v67, v101, v78
	;; [unrolled: 1-line block ×16, first 2 shown]
	ds_read_b128 v[66:69], v50 offset:192
	ds_read2_b64 v[70:73], v64 offset1:32
	s_waitcnt lgkmcnt(1)
	v_mul_u32_u24_sdwa v102, v67, v57 dst_sel:DWORD dst_unused:UNUSED_PAD src0_sel:WORD_1 src1_sel:DWORD
	s_waitcnt lgkmcnt(0)
	v_pk_fma_f16 v76, v70, v102, v76
	v_pk_fma_f16 v78, v71, v102, v78
	;; [unrolled: 1-line block ×4, first 2 shown]
	v_mul_u32_u24_sdwa v102, v66, v57 dst_sel:DWORD dst_unused:UNUSED_PAD src0_sel:WORD_0 src1_sel:DWORD
	v_mul_u32_u24_sdwa v66, v66, v57 dst_sel:DWORD dst_unused:UNUSED_PAD src0_sel:WORD_1 src1_sel:DWORD
	v_pk_fma_f16 v81, v71, v102, v81
	v_pk_fma_f16 v77, v71, v66, v77
	;; [unrolled: 1-line block ×5, first 2 shown]
	v_mul_u32_u24_sdwa v66, v67, v57 dst_sel:DWORD dst_unused:UNUSED_PAD src0_sel:WORD_0 src1_sel:DWORD
	v_pk_fma_f16 v79, v72, v102, v79
	v_pk_fma_f16 v80, v73, v102, v80
	v_pk_fma_f16 v24, v70, v102, v24
	v_pk_fma_f16 v71, v71, v66, v96
	v_pk_fma_f16 v72, v72, v66, v97
	v_pk_fma_f16 v73, v73, v66, v101
	v_pk_fma_f16 v70, v70, v66, v98
	v_mul_u32_u24_sdwa v96, v68, v57 dst_sel:DWORD dst_unused:UNUSED_PAD src0_sel:WORD_0 src1_sel:DWORD
	v_mul_u32_u24_sdwa v97, v68, v57 dst_sel:DWORD dst_unused:UNUSED_PAD src0_sel:WORD_1 src1_sel:DWORD
	v_mul_u32_u24_sdwa v98, v69, v57 dst_sel:DWORD dst_unused:UNUSED_PAD src0_sel:WORD_0 src1_sel:DWORD
	v_mul_u32_u24_sdwa v101, v69, v57 dst_sel:DWORD dst_unused:UNUSED_PAD src0_sel:WORD_1 src1_sel:DWORD
	ds_read2_b64 v[66:69], v64 offset0:64 offset1:96
	s_waitcnt lgkmcnt(0)
	v_pk_fma_f16 v76, v66, v101, v76
	v_pk_fma_f16 v78, v67, v101, v78
	;; [unrolled: 1-line block ×16, first 2 shown]
	ds_read_b128 v[66:69], v50 offset:208
	ds_read2_b64 v[70:73], v64 offset0:128 offset1:160
	s_waitcnt lgkmcnt(1)
	v_mul_u32_u24_sdwa v102, v67, v57 dst_sel:DWORD dst_unused:UNUSED_PAD src0_sel:WORD_1 src1_sel:DWORD
	s_waitcnt lgkmcnt(0)
	v_pk_fma_f16 v76, v70, v102, v76
	v_pk_fma_f16 v78, v71, v102, v78
	;; [unrolled: 1-line block ×4, first 2 shown]
	v_mul_u32_u24_sdwa v102, v66, v57 dst_sel:DWORD dst_unused:UNUSED_PAD src0_sel:WORD_0 src1_sel:DWORD
	v_mul_u32_u24_sdwa v66, v66, v57 dst_sel:DWORD dst_unused:UNUSED_PAD src0_sel:WORD_1 src1_sel:DWORD
	v_pk_fma_f16 v81, v71, v102, v81
	v_pk_fma_f16 v77, v71, v66, v77
	;; [unrolled: 1-line block ×5, first 2 shown]
	v_mul_u32_u24_sdwa v66, v67, v57 dst_sel:DWORD dst_unused:UNUSED_PAD src0_sel:WORD_0 src1_sel:DWORD
	v_pk_fma_f16 v79, v72, v102, v79
	v_pk_fma_f16 v80, v73, v102, v80
	v_pk_fma_f16 v24, v70, v102, v24
	v_pk_fma_f16 v71, v71, v66, v96
	v_pk_fma_f16 v72, v72, v66, v97
	v_pk_fma_f16 v73, v73, v66, v101
	v_pk_fma_f16 v70, v70, v66, v98
	v_mul_u32_u24_sdwa v96, v68, v57 dst_sel:DWORD dst_unused:UNUSED_PAD src0_sel:WORD_0 src1_sel:DWORD
	v_mul_u32_u24_sdwa v97, v68, v57 dst_sel:DWORD dst_unused:UNUSED_PAD src0_sel:WORD_1 src1_sel:DWORD
	v_mul_u32_u24_sdwa v98, v69, v57 dst_sel:DWORD dst_unused:UNUSED_PAD src0_sel:WORD_0 src1_sel:DWORD
	v_mul_u32_u24_sdwa v101, v69, v57 dst_sel:DWORD dst_unused:UNUSED_PAD src0_sel:WORD_1 src1_sel:DWORD
	ds_read2_b64 v[66:69], v64 offset0:192 offset1:224
	s_waitcnt lgkmcnt(0)
	v_pk_fma_f16 v76, v66, v101, v76
	v_pk_fma_f16 v78, v67, v101, v78
	;; [unrolled: 1-line block ×16, first 2 shown]
	ds_read_b128 v[66:69], v50 offset:224
	ds_read2_b64 v[70:73], v65 offset1:32
	s_waitcnt lgkmcnt(1)
	v_mul_u32_u24_sdwa v102, v67, v57 dst_sel:DWORD dst_unused:UNUSED_PAD src0_sel:WORD_1 src1_sel:DWORD
	s_waitcnt lgkmcnt(0)
	v_pk_fma_f16 v76, v70, v102, v76
	v_pk_fma_f16 v78, v71, v102, v78
	;; [unrolled: 1-line block ×4, first 2 shown]
	v_mul_u32_u24_sdwa v102, v66, v57 dst_sel:DWORD dst_unused:UNUSED_PAD src0_sel:WORD_0 src1_sel:DWORD
	v_mul_u32_u24_sdwa v66, v66, v57 dst_sel:DWORD dst_unused:UNUSED_PAD src0_sel:WORD_1 src1_sel:DWORD
	v_pk_fma_f16 v81, v71, v102, v81
	v_pk_fma_f16 v77, v71, v66, v77
	;; [unrolled: 1-line block ×5, first 2 shown]
	v_mul_u32_u24_sdwa v66, v67, v57 dst_sel:DWORD dst_unused:UNUSED_PAD src0_sel:WORD_0 src1_sel:DWORD
	v_pk_fma_f16 v79, v72, v102, v79
	v_pk_fma_f16 v80, v73, v102, v80
	;; [unrolled: 1-line block ×7, first 2 shown]
	v_mul_u32_u24_sdwa v96, v68, v57 dst_sel:DWORD dst_unused:UNUSED_PAD src0_sel:WORD_0 src1_sel:DWORD
	v_mul_u32_u24_sdwa v97, v68, v57 dst_sel:DWORD dst_unused:UNUSED_PAD src0_sel:WORD_1 src1_sel:DWORD
	v_mul_u32_u24_sdwa v98, v69, v57 dst_sel:DWORD dst_unused:UNUSED_PAD src0_sel:WORD_0 src1_sel:DWORD
	v_mul_u32_u24_sdwa v101, v69, v57 dst_sel:DWORD dst_unused:UNUSED_PAD src0_sel:WORD_1 src1_sel:DWORD
	ds_read2_b64 v[66:69], v65 offset0:64 offset1:96
	s_waitcnt lgkmcnt(0)
	v_pk_fma_f16 v76, v66, v101, v76
	v_pk_fma_f16 v78, v67, v101, v78
	;; [unrolled: 1-line block ×16, first 2 shown]
	ds_read_b128 v[66:69], v50 offset:240
	ds_read2_b64 v[70:73], v65 offset0:128 offset1:160
	s_waitcnt lgkmcnt(1)
	v_mul_u32_u24_sdwa v102, v67, v57 dst_sel:DWORD dst_unused:UNUSED_PAD src0_sel:WORD_1 src1_sel:DWORD
	v_mul_u32_u24_sdwa v110, v69, v57 dst_sel:DWORD dst_unused:UNUSED_PAD src0_sel:WORD_0 src1_sel:DWORD
	s_waitcnt lgkmcnt(0)
	v_pk_fma_f16 v76, v70, v102, v76
	v_pk_fma_f16 v78, v71, v102, v78
	;; [unrolled: 1-line block ×4, first 2 shown]
	v_mul_u32_u24_sdwa v99, v66, v57 dst_sel:DWORD dst_unused:UNUSED_PAD src0_sel:WORD_0 src1_sel:DWORD
	v_pk_fma_f16 v103, v70, v99, v24
	v_mul_u32_u24_sdwa v24, v66, v57 dst_sel:DWORD dst_unused:UNUSED_PAD src0_sel:WORD_1 src1_sel:DWORD
	v_pk_fma_f16 v81, v71, v99, v81
	v_pk_fma_f16 v79, v72, v99, v79
	;; [unrolled: 1-line block ×7, first 2 shown]
	v_mul_u32_u24_sdwa v24, v67, v57 dst_sel:DWORD dst_unused:UNUSED_PAD src0_sel:WORD_0 src1_sel:DWORD
	v_mul_u32_u24_sdwa v67, v69, v57 dst_sel:DWORD dst_unused:UNUSED_PAD src0_sel:WORD_1 src1_sel:DWORD
	v_pk_fma_f16 v107, v71, v24, v96
	v_pk_fma_f16 v108, v72, v24, v97
	;; [unrolled: 1-line block ×3, first 2 shown]
	ds_read2_b64 v[96:99], v65 offset0:192 offset1:224
	v_mul_u32_u24_sdwa v70, v68, v57 dst_sel:DWORD dst_unused:UNUSED_PAD src0_sel:WORD_0 src1_sel:DWORD
	v_pk_fma_f16 v101, v73, v24, v101
	v_mul_u32_u24_sdwa v68, v68, v57 dst_sel:DWORD dst_unused:UNUSED_PAD src0_sel:WORD_1 src1_sel:DWORD
	s_waitcnt lgkmcnt(0)
	s_barrier
	buffer_gl0_inv
	v_pk_fma_f16 v74, v99, v70, v80
	v_add_co_u32 v80, vcc_lo, s0, v16
	v_pk_fma_f16 v25, v97, v67, v78
	v_pk_fma_f16 v78, v97, v70, v81
	v_add_co_ci_u32_e64 v81, null, s1, v17, vcc_lo
	v_add_co_u32 v80, vcc_lo, v80, v48
	v_pk_fma_f16 v24, v96, v67, v76
	v_add_co_ci_u32_e64 v81, null, 0, v81, vcc_lo
	v_pk_fma_f16 v66, v98, v67, v100
	v_pk_fma_f16 v67, v99, v67, v102
	;; [unrolled: 1-line block ×12, first 2 shown]
	global_load_dwordx4 v[96:99], v[80:81], off
	v_add_co_u32 v80, vcc_lo, s0, v18
	v_add_co_ci_u32_e64 v81, null, s1, v19, vcc_lo
	v_add_co_u32 v80, vcc_lo, v80, v48
	v_add_co_ci_u32_e64 v81, null, 0, v81, vcc_lo
	s_waitcnt vmcnt(0)
	ds_write_b128 v51, v[96:99]
	global_load_dwordx4 v[96:99], v[80:81], off
	v_add_co_u32 v80, vcc_lo, s0, v20
	v_add_co_ci_u32_e64 v81, null, s1, v21, vcc_lo
	v_add_co_u32 v80, vcc_lo, v80, v48
	v_add_co_ci_u32_e64 v81, null, 0, v81, vcc_lo
	s_waitcnt vmcnt(0)
	ds_write_b128 v52, v[96:99]
	global_load_dwordx4 v[96:99], v[80:81], off
	v_add_co_u32 v80, vcc_lo, s0, v22
	v_add_co_ci_u32_e64 v81, null, s1, v23, vcc_lo
	s_or_b32 s0, s9, 64
	v_add_co_u32 v80, vcc_lo, v80, v48
	v_add_co_ci_u32_e64 v81, null, 0, v81, vcc_lo
	s_mul_hi_i32 s1, s0, s14
	s_mul_i32 s0, s0, s14
	s_lshl_b64 s[0:1], s[0:1], 2
	s_add_u32 s0, s12, s0
	s_addc_u32 s1, s13, s1
	s_waitcnt vmcnt(0)
	ds_write_b128 v53, v[96:99]
	global_load_dwordx4 v[96:99], v[80:81], off
	s_waitcnt vmcnt(0)
	ds_write_b128 v54, v[96:99]
	s_waitcnt lgkmcnt(0)
	s_barrier
	buffer_gl0_inv
	ds_read_b128 v[96:99], v50 offset:256
	ds_read2_b64 v[100:103], v58 offset1:32
	s_waitcnt lgkmcnt(1)
	v_mul_u32_u24_sdwa v80, v96, v57 dst_sel:DWORD dst_unused:UNUSED_PAD src0_sel:WORD_0 src1_sel:DWORD
	s_waitcnt lgkmcnt(0)
	v_pk_fma_f16 v79, v100, v80, v79
	v_pk_fma_f16 v78, v101, v80, v78
	;; [unrolled: 1-line block ×4, first 2 shown]
	v_mul_u32_u24_sdwa v80, v96, v57 dst_sel:DWORD dst_unused:UNUSED_PAD src0_sel:WORD_1 src1_sel:DWORD
	v_pk_fma_f16 v76, v100, v80, v76
	v_pk_fma_f16 v71, v101, v80, v71
	;; [unrolled: 1-line block ×4, first 2 shown]
	v_mul_u32_u24_sdwa v80, v97, v57 dst_sel:DWORD dst_unused:UNUSED_PAD src0_sel:WORD_0 src1_sel:DWORD
	v_pk_fma_f16 v81, v101, v80, v68
	v_mul_u32_u24_sdwa v68, v97, v57 dst_sel:DWORD dst_unused:UNUSED_PAD src0_sel:WORD_1 src1_sel:DWORD
	v_pk_fma_f16 v75, v100, v80, v75
	v_pk_fma_f16 v96, v102, v80, v69
	;; [unrolled: 1-line block ×7, first 2 shown]
	ds_read2_b64 v[66:69], v58 offset0:64 offset1:96
	v_mul_u32_u24_sdwa v100, v98, v57 dst_sel:DWORD dst_unused:UNUSED_PAD src0_sel:WORD_0 src1_sel:DWORD
	v_mul_u32_u24_sdwa v98, v98, v57 dst_sel:DWORD dst_unused:UNUSED_PAD src0_sel:WORD_1 src1_sel:DWORD
	v_mul_u32_u24_sdwa v101, v99, v57 dst_sel:DWORD dst_unused:UNUSED_PAD src0_sel:WORD_0 src1_sel:DWORD
	v_mul_u32_u24_sdwa v99, v99, v57 dst_sel:DWORD dst_unused:UNUSED_PAD src0_sel:WORD_1 src1_sel:DWORD
	s_waitcnt lgkmcnt(0)
	v_pk_fma_f16 v79, v66, v100, v79
	v_pk_fma_f16 v78, v67, v100, v78
	v_pk_fma_f16 v77, v68, v100, v77
	v_pk_fma_f16 v74, v69, v100, v74
	v_pk_fma_f16 v76, v66, v98, v76
	v_pk_fma_f16 v100, v67, v98, v71
	v_pk_fma_f16 v102, v68, v98, v72
	v_pk_fma_f16 v98, v69, v98, v73
	v_pk_fma_f16 v75, v66, v101, v75
	v_pk_fma_f16 v81, v67, v101, v81
	v_pk_fma_f16 v96, v68, v101, v96
	v_pk_fma_f16 v101, v69, v101, v70
	v_pk_fma_f16 v24, v66, v99, v24
	v_pk_fma_f16 v25, v67, v99, v25
	v_pk_fma_f16 v80, v68, v99, v80
	v_pk_fma_f16 v97, v69, v99, v97
	ds_read_b128 v[66:69], v50 offset:272
	ds_read2_b64 v[70:73], v58 offset0:128 offset1:160
	s_waitcnt lgkmcnt(1)
	v_mul_u32_u24_sdwa v99, v66, v57 dst_sel:DWORD dst_unused:UNUSED_PAD src0_sel:WORD_0 src1_sel:DWORD
	v_mul_u32_u24_sdwa v66, v66, v57 dst_sel:DWORD dst_unused:UNUSED_PAD src0_sel:WORD_1 src1_sel:DWORD
	s_waitcnt lgkmcnt(0)
	v_pk_fma_f16 v79, v70, v99, v79
	v_pk_fma_f16 v78, v71, v99, v78
	;; [unrolled: 1-line block ×8, first 2 shown]
	v_mul_u32_u24_sdwa v66, v67, v57 dst_sel:DWORD dst_unused:UNUSED_PAD src0_sel:WORD_0 src1_sel:DWORD
	v_pk_fma_f16 v75, v70, v66, v75
	v_pk_fma_f16 v81, v71, v66, v81
	;; [unrolled: 1-line block ×4, first 2 shown]
	v_mul_u32_u24_sdwa v66, v67, v57 dst_sel:DWORD dst_unused:UNUSED_PAD src0_sel:WORD_1 src1_sel:DWORD
	v_pk_fma_f16 v24, v70, v66, v24
	v_pk_fma_f16 v25, v71, v66, v25
	;; [unrolled: 1-line block ×4, first 2 shown]
	v_mul_u32_u24_sdwa v72, v68, v57 dst_sel:DWORD dst_unused:UNUSED_PAD src0_sel:WORD_0 src1_sel:DWORD
	v_mul_u32_u24_sdwa v73, v68, v57 dst_sel:DWORD dst_unused:UNUSED_PAD src0_sel:WORD_1 src1_sel:DWORD
	v_mul_u32_u24_sdwa v80, v69, v57 dst_sel:DWORD dst_unused:UNUSED_PAD src0_sel:WORD_0 src1_sel:DWORD
	v_mul_u32_u24_sdwa v97, v69, v57 dst_sel:DWORD dst_unused:UNUSED_PAD src0_sel:WORD_1 src1_sel:DWORD
	ds_read2_b64 v[66:69], v58 offset0:192 offset1:224
	s_waitcnt lgkmcnt(0)
	v_pk_fma_f16 v79, v66, v72, v79
	v_pk_fma_f16 v78, v67, v72, v78
	;; [unrolled: 1-line block ×16, first 2 shown]
	ds_read_b128 v[66:69], v50 offset:288
	ds_read2_b64 v[70:73], v59 offset1:32
	s_waitcnt lgkmcnt(1)
	v_mul_u32_u24_sdwa v102, v66, v57 dst_sel:DWORD dst_unused:UNUSED_PAD src0_sel:WORD_0 src1_sel:DWORD
	v_mul_u32_u24_sdwa v66, v66, v57 dst_sel:DWORD dst_unused:UNUSED_PAD src0_sel:WORD_1 src1_sel:DWORD
	s_waitcnt lgkmcnt(0)
	v_pk_fma_f16 v79, v70, v102, v79
	v_pk_fma_f16 v76, v70, v66, v76
	;; [unrolled: 1-line block ×5, first 2 shown]
	v_mul_u32_u24_sdwa v66, v67, v57 dst_sel:DWORD dst_unused:UNUSED_PAD src0_sel:WORD_0 src1_sel:DWORD
	v_pk_fma_f16 v78, v71, v102, v78
	v_pk_fma_f16 v77, v72, v102, v77
	;; [unrolled: 1-line block ×7, first 2 shown]
	v_mul_u32_u24_sdwa v66, v67, v57 dst_sel:DWORD dst_unused:UNUSED_PAD src0_sel:WORD_1 src1_sel:DWORD
	v_pk_fma_f16 v24, v70, v66, v24
	v_pk_fma_f16 v25, v71, v66, v25
	;; [unrolled: 1-line block ×4, first 2 shown]
	v_mul_u32_u24_sdwa v72, v68, v57 dst_sel:DWORD dst_unused:UNUSED_PAD src0_sel:WORD_0 src1_sel:DWORD
	v_mul_u32_u24_sdwa v73, v68, v57 dst_sel:DWORD dst_unused:UNUSED_PAD src0_sel:WORD_1 src1_sel:DWORD
	v_mul_u32_u24_sdwa v97, v69, v57 dst_sel:DWORD dst_unused:UNUSED_PAD src0_sel:WORD_0 src1_sel:DWORD
	v_mul_u32_u24_sdwa v101, v69, v57 dst_sel:DWORD dst_unused:UNUSED_PAD src0_sel:WORD_1 src1_sel:DWORD
	ds_read2_b64 v[66:69], v59 offset0:64 offset1:96
	s_waitcnt lgkmcnt(0)
	v_pk_fma_f16 v79, v66, v72, v79
	v_pk_fma_f16 v78, v67, v72, v78
	;; [unrolled: 1-line block ×16, first 2 shown]
	ds_read_b128 v[66:69], v50 offset:304
	ds_read2_b64 v[70:73], v59 offset0:128 offset1:160
	s_waitcnt lgkmcnt(1)
	v_mul_u32_u24_sdwa v102, v66, v57 dst_sel:DWORD dst_unused:UNUSED_PAD src0_sel:WORD_0 src1_sel:DWORD
	v_mul_u32_u24_sdwa v66, v66, v57 dst_sel:DWORD dst_unused:UNUSED_PAD src0_sel:WORD_1 src1_sel:DWORD
	s_waitcnt lgkmcnt(0)
	v_pk_fma_f16 v79, v70, v102, v79
	v_pk_fma_f16 v76, v70, v66, v76
	;; [unrolled: 1-line block ×5, first 2 shown]
	v_mul_u32_u24_sdwa v66, v67, v57 dst_sel:DWORD dst_unused:UNUSED_PAD src0_sel:WORD_0 src1_sel:DWORD
	v_pk_fma_f16 v78, v71, v102, v78
	v_pk_fma_f16 v77, v72, v102, v77
	v_pk_fma_f16 v74, v73, v102, v74
	v_pk_fma_f16 v75, v70, v66, v75
	v_pk_fma_f16 v81, v71, v66, v81
	v_pk_fma_f16 v96, v72, v66, v96
	v_pk_fma_f16 v80, v73, v66, v80
	v_mul_u32_u24_sdwa v66, v67, v57 dst_sel:DWORD dst_unused:UNUSED_PAD src0_sel:WORD_1 src1_sel:DWORD
	v_pk_fma_f16 v24, v70, v66, v24
	v_pk_fma_f16 v25, v71, v66, v25
	;; [unrolled: 1-line block ×4, first 2 shown]
	v_mul_u32_u24_sdwa v72, v68, v57 dst_sel:DWORD dst_unused:UNUSED_PAD src0_sel:WORD_0 src1_sel:DWORD
	v_mul_u32_u24_sdwa v73, v68, v57 dst_sel:DWORD dst_unused:UNUSED_PAD src0_sel:WORD_1 src1_sel:DWORD
	v_mul_u32_u24_sdwa v97, v69, v57 dst_sel:DWORD dst_unused:UNUSED_PAD src0_sel:WORD_0 src1_sel:DWORD
	v_mul_u32_u24_sdwa v101, v69, v57 dst_sel:DWORD dst_unused:UNUSED_PAD src0_sel:WORD_1 src1_sel:DWORD
	ds_read2_b64 v[66:69], v59 offset0:192 offset1:224
	s_waitcnt lgkmcnt(0)
	v_pk_fma_f16 v79, v66, v72, v79
	v_pk_fma_f16 v78, v67, v72, v78
	;; [unrolled: 1-line block ×16, first 2 shown]
	ds_read_b128 v[66:69], v50 offset:320
	ds_read2_b64 v[70:73], v60 offset1:32
	s_waitcnt lgkmcnt(1)
	v_mul_u32_u24_sdwa v102, v66, v57 dst_sel:DWORD dst_unused:UNUSED_PAD src0_sel:WORD_0 src1_sel:DWORD
	v_mul_u32_u24_sdwa v66, v66, v57 dst_sel:DWORD dst_unused:UNUSED_PAD src0_sel:WORD_1 src1_sel:DWORD
	s_waitcnt lgkmcnt(0)
	v_pk_fma_f16 v79, v70, v102, v79
	v_pk_fma_f16 v76, v70, v66, v76
	;; [unrolled: 1-line block ×5, first 2 shown]
	v_mul_u32_u24_sdwa v66, v67, v57 dst_sel:DWORD dst_unused:UNUSED_PAD src0_sel:WORD_0 src1_sel:DWORD
	v_pk_fma_f16 v78, v71, v102, v78
	v_pk_fma_f16 v77, v72, v102, v77
	;; [unrolled: 1-line block ×7, first 2 shown]
	v_mul_u32_u24_sdwa v66, v67, v57 dst_sel:DWORD dst_unused:UNUSED_PAD src0_sel:WORD_1 src1_sel:DWORD
	v_pk_fma_f16 v24, v70, v66, v24
	v_pk_fma_f16 v25, v71, v66, v25
	;; [unrolled: 1-line block ×4, first 2 shown]
	v_mul_u32_u24_sdwa v72, v68, v57 dst_sel:DWORD dst_unused:UNUSED_PAD src0_sel:WORD_0 src1_sel:DWORD
	v_mul_u32_u24_sdwa v73, v68, v57 dst_sel:DWORD dst_unused:UNUSED_PAD src0_sel:WORD_1 src1_sel:DWORD
	v_mul_u32_u24_sdwa v97, v69, v57 dst_sel:DWORD dst_unused:UNUSED_PAD src0_sel:WORD_0 src1_sel:DWORD
	v_mul_u32_u24_sdwa v101, v69, v57 dst_sel:DWORD dst_unused:UNUSED_PAD src0_sel:WORD_1 src1_sel:DWORD
	ds_read2_b64 v[66:69], v60 offset0:64 offset1:96
	s_waitcnt lgkmcnt(0)
	v_pk_fma_f16 v79, v66, v72, v79
	v_pk_fma_f16 v78, v67, v72, v78
	v_pk_fma_f16 v77, v68, v72, v77
	v_pk_fma_f16 v74, v69, v72, v74
	v_pk_fma_f16 v76, v66, v73, v76
	v_pk_fma_f16 v99, v67, v73, v99
	v_pk_fma_f16 v100, v68, v73, v100
	v_pk_fma_f16 v98, v69, v73, v98
	v_pk_fma_f16 v75, v66, v97, v75
	v_pk_fma_f16 v81, v67, v97, v81
	v_pk_fma_f16 v96, v68, v97, v96
	v_pk_fma_f16 v80, v69, v97, v80
	v_pk_fma_f16 v24, v66, v101, v24
	v_pk_fma_f16 v25, v67, v101, v25
	v_pk_fma_f16 v97, v68, v101, v70
	v_pk_fma_f16 v101, v69, v101, v71
	ds_read_b128 v[66:69], v50 offset:336
	ds_read2_b64 v[70:73], v60 offset0:128 offset1:160
	s_waitcnt lgkmcnt(1)
	v_mul_u32_u24_sdwa v102, v66, v57 dst_sel:DWORD dst_unused:UNUSED_PAD src0_sel:WORD_0 src1_sel:DWORD
	v_mul_u32_u24_sdwa v66, v66, v57 dst_sel:DWORD dst_unused:UNUSED_PAD src0_sel:WORD_1 src1_sel:DWORD
	s_waitcnt lgkmcnt(0)
	v_pk_fma_f16 v79, v70, v102, v79
	v_pk_fma_f16 v76, v70, v66, v76
	;; [unrolled: 1-line block ×5, first 2 shown]
	v_mul_u32_u24_sdwa v66, v67, v57 dst_sel:DWORD dst_unused:UNUSED_PAD src0_sel:WORD_0 src1_sel:DWORD
	v_pk_fma_f16 v78, v71, v102, v78
	v_pk_fma_f16 v77, v72, v102, v77
	;; [unrolled: 1-line block ×7, first 2 shown]
	v_mul_u32_u24_sdwa v66, v67, v57 dst_sel:DWORD dst_unused:UNUSED_PAD src0_sel:WORD_1 src1_sel:DWORD
	v_pk_fma_f16 v24, v70, v66, v24
	v_pk_fma_f16 v25, v71, v66, v25
	;; [unrolled: 1-line block ×4, first 2 shown]
	v_mul_u32_u24_sdwa v72, v68, v57 dst_sel:DWORD dst_unused:UNUSED_PAD src0_sel:WORD_0 src1_sel:DWORD
	v_mul_u32_u24_sdwa v73, v68, v57 dst_sel:DWORD dst_unused:UNUSED_PAD src0_sel:WORD_1 src1_sel:DWORD
	v_mul_u32_u24_sdwa v97, v69, v57 dst_sel:DWORD dst_unused:UNUSED_PAD src0_sel:WORD_0 src1_sel:DWORD
	v_mul_u32_u24_sdwa v101, v69, v57 dst_sel:DWORD dst_unused:UNUSED_PAD src0_sel:WORD_1 src1_sel:DWORD
	ds_read2_b64 v[66:69], v60 offset0:192 offset1:224
	s_waitcnt lgkmcnt(0)
	v_pk_fma_f16 v79, v66, v72, v79
	v_pk_fma_f16 v78, v67, v72, v78
	;; [unrolled: 1-line block ×16, first 2 shown]
	ds_read_b128 v[66:69], v50 offset:352
	ds_read2_b64 v[70:73], v61 offset1:32
	s_waitcnt lgkmcnt(1)
	v_mul_u32_u24_sdwa v102, v66, v57 dst_sel:DWORD dst_unused:UNUSED_PAD src0_sel:WORD_0 src1_sel:DWORD
	v_mul_u32_u24_sdwa v66, v66, v57 dst_sel:DWORD dst_unused:UNUSED_PAD src0_sel:WORD_1 src1_sel:DWORD
	s_waitcnt lgkmcnt(0)
	v_pk_fma_f16 v79, v70, v102, v79
	v_pk_fma_f16 v76, v70, v66, v76
	;; [unrolled: 1-line block ×5, first 2 shown]
	v_mul_u32_u24_sdwa v66, v67, v57 dst_sel:DWORD dst_unused:UNUSED_PAD src0_sel:WORD_0 src1_sel:DWORD
	v_pk_fma_f16 v78, v71, v102, v78
	v_pk_fma_f16 v77, v72, v102, v77
	;; [unrolled: 1-line block ×7, first 2 shown]
	v_mul_u32_u24_sdwa v66, v67, v57 dst_sel:DWORD dst_unused:UNUSED_PAD src0_sel:WORD_1 src1_sel:DWORD
	v_pk_fma_f16 v24, v70, v66, v24
	v_pk_fma_f16 v25, v71, v66, v25
	;; [unrolled: 1-line block ×4, first 2 shown]
	v_mul_u32_u24_sdwa v72, v68, v57 dst_sel:DWORD dst_unused:UNUSED_PAD src0_sel:WORD_0 src1_sel:DWORD
	v_mul_u32_u24_sdwa v73, v68, v57 dst_sel:DWORD dst_unused:UNUSED_PAD src0_sel:WORD_1 src1_sel:DWORD
	v_mul_u32_u24_sdwa v97, v69, v57 dst_sel:DWORD dst_unused:UNUSED_PAD src0_sel:WORD_0 src1_sel:DWORD
	v_mul_u32_u24_sdwa v101, v69, v57 dst_sel:DWORD dst_unused:UNUSED_PAD src0_sel:WORD_1 src1_sel:DWORD
	ds_read2_b64 v[66:69], v61 offset0:64 offset1:96
	s_waitcnt lgkmcnt(0)
	v_pk_fma_f16 v79, v66, v72, v79
	v_pk_fma_f16 v78, v67, v72, v78
	;; [unrolled: 1-line block ×16, first 2 shown]
	ds_read_b128 v[66:69], v50 offset:368
	ds_read2_b64 v[70:73], v61 offset0:128 offset1:160
	s_waitcnt lgkmcnt(1)
	v_mul_u32_u24_sdwa v102, v66, v57 dst_sel:DWORD dst_unused:UNUSED_PAD src0_sel:WORD_0 src1_sel:DWORD
	v_mul_u32_u24_sdwa v66, v66, v57 dst_sel:DWORD dst_unused:UNUSED_PAD src0_sel:WORD_1 src1_sel:DWORD
	s_waitcnt lgkmcnt(0)
	v_pk_fma_f16 v79, v70, v102, v79
	v_pk_fma_f16 v76, v70, v66, v76
	;; [unrolled: 1-line block ×5, first 2 shown]
	v_mul_u32_u24_sdwa v66, v67, v57 dst_sel:DWORD dst_unused:UNUSED_PAD src0_sel:WORD_0 src1_sel:DWORD
	v_pk_fma_f16 v78, v71, v102, v78
	v_pk_fma_f16 v77, v72, v102, v77
	;; [unrolled: 1-line block ×7, first 2 shown]
	v_mul_u32_u24_sdwa v66, v67, v57 dst_sel:DWORD dst_unused:UNUSED_PAD src0_sel:WORD_1 src1_sel:DWORD
	v_pk_fma_f16 v24, v70, v66, v24
	v_pk_fma_f16 v25, v71, v66, v25
	v_pk_fma_f16 v70, v72, v66, v97
	v_pk_fma_f16 v71, v73, v66, v101
	v_mul_u32_u24_sdwa v72, v68, v57 dst_sel:DWORD dst_unused:UNUSED_PAD src0_sel:WORD_0 src1_sel:DWORD
	v_mul_u32_u24_sdwa v73, v68, v57 dst_sel:DWORD dst_unused:UNUSED_PAD src0_sel:WORD_1 src1_sel:DWORD
	v_mul_u32_u24_sdwa v97, v69, v57 dst_sel:DWORD dst_unused:UNUSED_PAD src0_sel:WORD_0 src1_sel:DWORD
	v_mul_u32_u24_sdwa v101, v69, v57 dst_sel:DWORD dst_unused:UNUSED_PAD src0_sel:WORD_1 src1_sel:DWORD
	ds_read2_b64 v[66:69], v61 offset0:192 offset1:224
	s_waitcnt lgkmcnt(0)
	v_pk_fma_f16 v79, v66, v72, v79
	v_pk_fma_f16 v78, v67, v72, v78
	;; [unrolled: 1-line block ×16, first 2 shown]
	ds_read_b128 v[66:69], v50 offset:384
	ds_read2_b64 v[70:73], v62 offset1:32
	s_waitcnt lgkmcnt(1)
	v_mul_u32_u24_sdwa v102, v66, v57 dst_sel:DWORD dst_unused:UNUSED_PAD src0_sel:WORD_0 src1_sel:DWORD
	v_mul_u32_u24_sdwa v66, v66, v57 dst_sel:DWORD dst_unused:UNUSED_PAD src0_sel:WORD_1 src1_sel:DWORD
	s_waitcnt lgkmcnt(0)
	v_pk_fma_f16 v79, v70, v102, v79
	v_pk_fma_f16 v76, v70, v66, v76
	;; [unrolled: 1-line block ×5, first 2 shown]
	v_mul_u32_u24_sdwa v66, v67, v57 dst_sel:DWORD dst_unused:UNUSED_PAD src0_sel:WORD_0 src1_sel:DWORD
	v_pk_fma_f16 v78, v71, v102, v78
	v_pk_fma_f16 v77, v72, v102, v77
	;; [unrolled: 1-line block ×7, first 2 shown]
	v_mul_u32_u24_sdwa v66, v67, v57 dst_sel:DWORD dst_unused:UNUSED_PAD src0_sel:WORD_1 src1_sel:DWORD
	v_pk_fma_f16 v24, v70, v66, v24
	v_pk_fma_f16 v25, v71, v66, v25
	;; [unrolled: 1-line block ×4, first 2 shown]
	v_mul_u32_u24_sdwa v72, v68, v57 dst_sel:DWORD dst_unused:UNUSED_PAD src0_sel:WORD_0 src1_sel:DWORD
	v_mul_u32_u24_sdwa v73, v68, v57 dst_sel:DWORD dst_unused:UNUSED_PAD src0_sel:WORD_1 src1_sel:DWORD
	v_mul_u32_u24_sdwa v97, v69, v57 dst_sel:DWORD dst_unused:UNUSED_PAD src0_sel:WORD_0 src1_sel:DWORD
	v_mul_u32_u24_sdwa v101, v69, v57 dst_sel:DWORD dst_unused:UNUSED_PAD src0_sel:WORD_1 src1_sel:DWORD
	ds_read2_b64 v[66:69], v62 offset0:64 offset1:96
	s_waitcnt lgkmcnt(0)
	v_pk_fma_f16 v79, v66, v72, v79
	v_pk_fma_f16 v78, v67, v72, v78
	;; [unrolled: 1-line block ×16, first 2 shown]
	ds_read_b128 v[66:69], v50 offset:400
	ds_read2_b64 v[70:73], v62 offset0:128 offset1:160
	s_waitcnt lgkmcnt(1)
	v_mul_u32_u24_sdwa v102, v66, v57 dst_sel:DWORD dst_unused:UNUSED_PAD src0_sel:WORD_0 src1_sel:DWORD
	v_mul_u32_u24_sdwa v66, v66, v57 dst_sel:DWORD dst_unused:UNUSED_PAD src0_sel:WORD_1 src1_sel:DWORD
	s_waitcnt lgkmcnt(0)
	v_pk_fma_f16 v79, v70, v102, v79
	v_pk_fma_f16 v76, v70, v66, v76
	v_pk_fma_f16 v99, v71, v66, v99
	v_pk_fma_f16 v100, v72, v66, v100
	v_pk_fma_f16 v98, v73, v66, v98
	v_mul_u32_u24_sdwa v66, v67, v57 dst_sel:DWORD dst_unused:UNUSED_PAD src0_sel:WORD_0 src1_sel:DWORD
	v_pk_fma_f16 v78, v71, v102, v78
	v_pk_fma_f16 v77, v72, v102, v77
	;; [unrolled: 1-line block ×7, first 2 shown]
	v_mul_u32_u24_sdwa v66, v67, v57 dst_sel:DWORD dst_unused:UNUSED_PAD src0_sel:WORD_1 src1_sel:DWORD
	v_pk_fma_f16 v24, v70, v66, v24
	v_pk_fma_f16 v25, v71, v66, v25
	;; [unrolled: 1-line block ×4, first 2 shown]
	v_mul_u32_u24_sdwa v72, v68, v57 dst_sel:DWORD dst_unused:UNUSED_PAD src0_sel:WORD_0 src1_sel:DWORD
	v_mul_u32_u24_sdwa v73, v68, v57 dst_sel:DWORD dst_unused:UNUSED_PAD src0_sel:WORD_1 src1_sel:DWORD
	v_mul_u32_u24_sdwa v97, v69, v57 dst_sel:DWORD dst_unused:UNUSED_PAD src0_sel:WORD_0 src1_sel:DWORD
	v_mul_u32_u24_sdwa v101, v69, v57 dst_sel:DWORD dst_unused:UNUSED_PAD src0_sel:WORD_1 src1_sel:DWORD
	ds_read2_b64 v[66:69], v62 offset0:192 offset1:224
	s_waitcnt lgkmcnt(0)
	v_pk_fma_f16 v79, v66, v72, v79
	v_pk_fma_f16 v78, v67, v72, v78
	v_pk_fma_f16 v77, v68, v72, v77
	v_pk_fma_f16 v74, v69, v72, v74
	v_pk_fma_f16 v76, v66, v73, v76
	v_pk_fma_f16 v99, v67, v73, v99
	v_pk_fma_f16 v100, v68, v73, v100
	v_pk_fma_f16 v98, v69, v73, v98
	v_pk_fma_f16 v75, v66, v97, v75
	v_pk_fma_f16 v81, v67, v97, v81
	v_pk_fma_f16 v96, v68, v97, v96
	v_pk_fma_f16 v80, v69, v97, v80
	v_pk_fma_f16 v24, v66, v101, v24
	v_pk_fma_f16 v25, v67, v101, v25
	v_pk_fma_f16 v97, v68, v101, v70
	v_pk_fma_f16 v101, v69, v101, v71
	ds_read_b128 v[66:69], v50 offset:416
	ds_read2_b64 v[70:73], v63 offset1:32
	s_waitcnt lgkmcnt(1)
	v_mul_u32_u24_sdwa v102, v66, v57 dst_sel:DWORD dst_unused:UNUSED_PAD src0_sel:WORD_0 src1_sel:DWORD
	v_mul_u32_u24_sdwa v66, v66, v57 dst_sel:DWORD dst_unused:UNUSED_PAD src0_sel:WORD_1 src1_sel:DWORD
	s_waitcnt lgkmcnt(0)
	v_pk_fma_f16 v79, v70, v102, v79
	v_pk_fma_f16 v76, v70, v66, v76
	;; [unrolled: 1-line block ×5, first 2 shown]
	v_mul_u32_u24_sdwa v66, v67, v57 dst_sel:DWORD dst_unused:UNUSED_PAD src0_sel:WORD_0 src1_sel:DWORD
	v_pk_fma_f16 v78, v71, v102, v78
	v_pk_fma_f16 v77, v72, v102, v77
	;; [unrolled: 1-line block ×7, first 2 shown]
	v_mul_u32_u24_sdwa v66, v67, v57 dst_sel:DWORD dst_unused:UNUSED_PAD src0_sel:WORD_1 src1_sel:DWORD
	v_pk_fma_f16 v24, v70, v66, v24
	v_pk_fma_f16 v25, v71, v66, v25
	;; [unrolled: 1-line block ×4, first 2 shown]
	v_mul_u32_u24_sdwa v72, v68, v57 dst_sel:DWORD dst_unused:UNUSED_PAD src0_sel:WORD_0 src1_sel:DWORD
	v_mul_u32_u24_sdwa v73, v68, v57 dst_sel:DWORD dst_unused:UNUSED_PAD src0_sel:WORD_1 src1_sel:DWORD
	v_mul_u32_u24_sdwa v97, v69, v57 dst_sel:DWORD dst_unused:UNUSED_PAD src0_sel:WORD_0 src1_sel:DWORD
	v_mul_u32_u24_sdwa v101, v69, v57 dst_sel:DWORD dst_unused:UNUSED_PAD src0_sel:WORD_1 src1_sel:DWORD
	ds_read2_b64 v[66:69], v63 offset0:64 offset1:96
	s_waitcnt lgkmcnt(0)
	v_pk_fma_f16 v79, v66, v72, v79
	v_pk_fma_f16 v78, v67, v72, v78
	;; [unrolled: 1-line block ×16, first 2 shown]
	ds_read_b128 v[66:69], v50 offset:432
	ds_read2_b64 v[70:73], v63 offset0:128 offset1:160
	s_waitcnt lgkmcnt(1)
	v_mul_u32_u24_sdwa v102, v66, v57 dst_sel:DWORD dst_unused:UNUSED_PAD src0_sel:WORD_0 src1_sel:DWORD
	v_mul_u32_u24_sdwa v66, v66, v57 dst_sel:DWORD dst_unused:UNUSED_PAD src0_sel:WORD_1 src1_sel:DWORD
	s_waitcnt lgkmcnt(0)
	v_pk_fma_f16 v79, v70, v102, v79
	v_pk_fma_f16 v76, v70, v66, v76
	;; [unrolled: 1-line block ×5, first 2 shown]
	v_mul_u32_u24_sdwa v66, v67, v57 dst_sel:DWORD dst_unused:UNUSED_PAD src0_sel:WORD_0 src1_sel:DWORD
	v_pk_fma_f16 v78, v71, v102, v78
	v_pk_fma_f16 v77, v72, v102, v77
	;; [unrolled: 1-line block ×7, first 2 shown]
	v_mul_u32_u24_sdwa v66, v67, v57 dst_sel:DWORD dst_unused:UNUSED_PAD src0_sel:WORD_1 src1_sel:DWORD
	v_pk_fma_f16 v24, v70, v66, v24
	v_pk_fma_f16 v25, v71, v66, v25
	;; [unrolled: 1-line block ×4, first 2 shown]
	v_mul_u32_u24_sdwa v72, v68, v57 dst_sel:DWORD dst_unused:UNUSED_PAD src0_sel:WORD_0 src1_sel:DWORD
	v_mul_u32_u24_sdwa v73, v68, v57 dst_sel:DWORD dst_unused:UNUSED_PAD src0_sel:WORD_1 src1_sel:DWORD
	v_mul_u32_u24_sdwa v97, v69, v57 dst_sel:DWORD dst_unused:UNUSED_PAD src0_sel:WORD_0 src1_sel:DWORD
	v_mul_u32_u24_sdwa v101, v69, v57 dst_sel:DWORD dst_unused:UNUSED_PAD src0_sel:WORD_1 src1_sel:DWORD
	ds_read2_b64 v[66:69], v63 offset0:192 offset1:224
	s_waitcnt lgkmcnt(0)
	v_pk_fma_f16 v79, v66, v72, v79
	v_pk_fma_f16 v78, v67, v72, v78
	;; [unrolled: 1-line block ×16, first 2 shown]
	ds_read_b128 v[66:69], v50 offset:448
	ds_read2_b64 v[70:73], v64 offset1:32
	s_waitcnt lgkmcnt(1)
	v_mul_u32_u24_sdwa v102, v66, v57 dst_sel:DWORD dst_unused:UNUSED_PAD src0_sel:WORD_0 src1_sel:DWORD
	v_mul_u32_u24_sdwa v66, v66, v57 dst_sel:DWORD dst_unused:UNUSED_PAD src0_sel:WORD_1 src1_sel:DWORD
	s_waitcnt lgkmcnt(0)
	v_pk_fma_f16 v79, v70, v102, v79
	v_pk_fma_f16 v76, v70, v66, v76
	;; [unrolled: 1-line block ×5, first 2 shown]
	v_mul_u32_u24_sdwa v66, v67, v57 dst_sel:DWORD dst_unused:UNUSED_PAD src0_sel:WORD_0 src1_sel:DWORD
	v_pk_fma_f16 v78, v71, v102, v78
	v_pk_fma_f16 v77, v72, v102, v77
	;; [unrolled: 1-line block ×7, first 2 shown]
	v_mul_u32_u24_sdwa v66, v67, v57 dst_sel:DWORD dst_unused:UNUSED_PAD src0_sel:WORD_1 src1_sel:DWORD
	v_pk_fma_f16 v24, v70, v66, v24
	v_pk_fma_f16 v25, v71, v66, v25
	;; [unrolled: 1-line block ×4, first 2 shown]
	v_mul_u32_u24_sdwa v72, v68, v57 dst_sel:DWORD dst_unused:UNUSED_PAD src0_sel:WORD_0 src1_sel:DWORD
	v_mul_u32_u24_sdwa v73, v68, v57 dst_sel:DWORD dst_unused:UNUSED_PAD src0_sel:WORD_1 src1_sel:DWORD
	v_mul_u32_u24_sdwa v97, v69, v57 dst_sel:DWORD dst_unused:UNUSED_PAD src0_sel:WORD_0 src1_sel:DWORD
	v_mul_u32_u24_sdwa v101, v69, v57 dst_sel:DWORD dst_unused:UNUSED_PAD src0_sel:WORD_1 src1_sel:DWORD
	ds_read2_b64 v[66:69], v64 offset0:64 offset1:96
	s_waitcnt lgkmcnt(0)
	v_pk_fma_f16 v79, v66, v72, v79
	v_pk_fma_f16 v78, v67, v72, v78
	;; [unrolled: 1-line block ×16, first 2 shown]
	ds_read_b128 v[66:69], v50 offset:464
	ds_read2_b64 v[70:73], v64 offset0:128 offset1:160
	s_waitcnt lgkmcnt(1)
	v_mul_u32_u24_sdwa v102, v66, v57 dst_sel:DWORD dst_unused:UNUSED_PAD src0_sel:WORD_0 src1_sel:DWORD
	v_mul_u32_u24_sdwa v66, v66, v57 dst_sel:DWORD dst_unused:UNUSED_PAD src0_sel:WORD_1 src1_sel:DWORD
	s_waitcnt lgkmcnt(0)
	v_pk_fma_f16 v79, v70, v102, v79
	v_pk_fma_f16 v76, v70, v66, v76
	;; [unrolled: 1-line block ×5, first 2 shown]
	v_mul_u32_u24_sdwa v66, v67, v57 dst_sel:DWORD dst_unused:UNUSED_PAD src0_sel:WORD_0 src1_sel:DWORD
	v_pk_fma_f16 v78, v71, v102, v78
	v_pk_fma_f16 v77, v72, v102, v77
	;; [unrolled: 1-line block ×7, first 2 shown]
	v_mul_u32_u24_sdwa v66, v67, v57 dst_sel:DWORD dst_unused:UNUSED_PAD src0_sel:WORD_1 src1_sel:DWORD
	v_pk_fma_f16 v24, v70, v66, v24
	v_pk_fma_f16 v25, v71, v66, v25
	;; [unrolled: 1-line block ×4, first 2 shown]
	v_mul_u32_u24_sdwa v72, v68, v57 dst_sel:DWORD dst_unused:UNUSED_PAD src0_sel:WORD_0 src1_sel:DWORD
	v_mul_u32_u24_sdwa v73, v68, v57 dst_sel:DWORD dst_unused:UNUSED_PAD src0_sel:WORD_1 src1_sel:DWORD
	v_mul_u32_u24_sdwa v97, v69, v57 dst_sel:DWORD dst_unused:UNUSED_PAD src0_sel:WORD_0 src1_sel:DWORD
	v_mul_u32_u24_sdwa v101, v69, v57 dst_sel:DWORD dst_unused:UNUSED_PAD src0_sel:WORD_1 src1_sel:DWORD
	ds_read2_b64 v[66:69], v64 offset0:192 offset1:224
	s_waitcnt lgkmcnt(0)
	v_pk_fma_f16 v79, v66, v72, v79
	v_pk_fma_f16 v78, v67, v72, v78
	v_pk_fma_f16 v77, v68, v72, v77
	v_pk_fma_f16 v74, v69, v72, v74
	v_pk_fma_f16 v76, v66, v73, v76
	v_pk_fma_f16 v99, v67, v73, v99
	v_pk_fma_f16 v100, v68, v73, v100
	v_pk_fma_f16 v98, v69, v73, v98
	v_pk_fma_f16 v75, v66, v97, v75
	v_pk_fma_f16 v81, v67, v97, v81
	v_pk_fma_f16 v96, v68, v97, v96
	v_pk_fma_f16 v80, v69, v97, v80
	v_pk_fma_f16 v24, v66, v101, v24
	v_pk_fma_f16 v25, v67, v101, v25
	v_pk_fma_f16 v97, v68, v101, v70
	v_pk_fma_f16 v101, v69, v101, v71
	ds_read_b128 v[66:69], v50 offset:480
	ds_read2_b64 v[70:73], v65 offset1:32
	s_waitcnt lgkmcnt(1)
	v_mul_u32_u24_sdwa v102, v66, v57 dst_sel:DWORD dst_unused:UNUSED_PAD src0_sel:WORD_0 src1_sel:DWORD
	v_mul_u32_u24_sdwa v66, v66, v57 dst_sel:DWORD dst_unused:UNUSED_PAD src0_sel:WORD_1 src1_sel:DWORD
	s_waitcnt lgkmcnt(0)
	v_pk_fma_f16 v79, v70, v102, v79
	v_pk_fma_f16 v76, v70, v66, v76
	;; [unrolled: 1-line block ×5, first 2 shown]
	v_mul_u32_u24_sdwa v66, v67, v57 dst_sel:DWORD dst_unused:UNUSED_PAD src0_sel:WORD_0 src1_sel:DWORD
	v_pk_fma_f16 v78, v71, v102, v78
	v_pk_fma_f16 v77, v72, v102, v77
	v_pk_fma_f16 v74, v73, v102, v74
	v_pk_fma_f16 v75, v70, v66, v75
	v_pk_fma_f16 v81, v71, v66, v81
	v_pk_fma_f16 v96, v72, v66, v96
	v_pk_fma_f16 v80, v73, v66, v80
	v_mul_u32_u24_sdwa v66, v67, v57 dst_sel:DWORD dst_unused:UNUSED_PAD src0_sel:WORD_1 src1_sel:DWORD
	v_pk_fma_f16 v24, v70, v66, v24
	v_pk_fma_f16 v25, v71, v66, v25
	;; [unrolled: 1-line block ×4, first 2 shown]
	v_mul_u32_u24_sdwa v72, v68, v57 dst_sel:DWORD dst_unused:UNUSED_PAD src0_sel:WORD_0 src1_sel:DWORD
	v_mul_u32_u24_sdwa v73, v68, v57 dst_sel:DWORD dst_unused:UNUSED_PAD src0_sel:WORD_1 src1_sel:DWORD
	v_mul_u32_u24_sdwa v97, v69, v57 dst_sel:DWORD dst_unused:UNUSED_PAD src0_sel:WORD_0 src1_sel:DWORD
	v_mul_u32_u24_sdwa v101, v69, v57 dst_sel:DWORD dst_unused:UNUSED_PAD src0_sel:WORD_1 src1_sel:DWORD
	ds_read2_b64 v[66:69], v65 offset0:64 offset1:96
	s_waitcnt lgkmcnt(0)
	v_pk_fma_f16 v79, v66, v72, v79
	v_pk_fma_f16 v78, v67, v72, v78
	;; [unrolled: 1-line block ×16, first 2 shown]
	ds_read_b128 v[66:69], v50 offset:496
	ds_read2_b64 v[70:73], v65 offset0:128 offset1:160
	s_waitcnt lgkmcnt(1)
	v_mul_u32_u24_sdwa v102, v66, v57 dst_sel:DWORD dst_unused:UNUSED_PAD src0_sel:WORD_0 src1_sel:DWORD
	v_mul_u32_u24_sdwa v66, v66, v57 dst_sel:DWORD dst_unused:UNUSED_PAD src0_sel:WORD_1 src1_sel:DWORD
	s_waitcnt lgkmcnt(0)
	v_pk_fma_f16 v79, v70, v102, v79
	v_pk_fma_f16 v78, v71, v102, v78
	;; [unrolled: 1-line block ×5, first 2 shown]
	v_mul_u32_u24_sdwa v76, v67, v57 dst_sel:DWORD dst_unused:UNUSED_PAD src0_sel:WORD_0 src1_sel:DWORD
	v_mul_u32_u24_sdwa v67, v67, v57 dst_sel:DWORD dst_unused:UNUSED_PAD src0_sel:WORD_1 src1_sel:DWORD
	v_pk_fma_f16 v104, v71, v66, v99
	v_pk_fma_f16 v100, v72, v66, v100
	;; [unrolled: 1-line block ×5, first 2 shown]
	ds_read2_b64 v[96:99], v65 offset0:192 offset1:224
	v_pk_fma_f16 v105, v70, v76, v75
	v_pk_fma_f16 v81, v71, v76, v81
	;; [unrolled: 1-line block ×5, first 2 shown]
	v_mul_u32_u24_sdwa v70, v68, v57 dst_sel:DWORD dst_unused:UNUSED_PAD src0_sel:WORD_0 src1_sel:DWORD
	v_mul_u32_u24_sdwa v68, v68, v57 dst_sel:DWORD dst_unused:UNUSED_PAD src0_sel:WORD_1 src1_sel:DWORD
	v_mul_u32_u24_sdwa v71, v69, v57 dst_sel:DWORD dst_unused:UNUSED_PAD src0_sel:WORD_0 src1_sel:DWORD
	v_pk_fma_f16 v67, v73, v67, v101
	v_mul_u32_u24_sdwa v101, v69, v57 dst_sel:DWORD dst_unused:UNUSED_PAD src0_sel:WORD_1 src1_sel:DWORD
	s_waitcnt lgkmcnt(0)
	s_barrier
	buffer_gl0_inv
	v_pk_fma_f16 v76, v96, v70, v79
	v_pk_fma_f16 v77, v97, v70, v78
	;; [unrolled: 1-line block ×12, first 2 shown]
	v_add_co_u32 v80, vcc_lo, s0, v16
	v_add_co_ci_u32_e64 v81, null, s1, v17, vcc_lo
	v_pk_fma_f16 v24, v96, v101, v24
	v_add_co_u32 v80, vcc_lo, v80, v48
	v_add_co_ci_u32_e64 v81, null, 0, v81, vcc_lo
	v_pk_fma_f16 v25, v97, v101, v25
	v_pk_fma_f16 v66, v98, v101, v107
	;; [unrolled: 1-line block ×3, first 2 shown]
	global_load_dwordx4 v[96:99], v[80:81], off
	v_add_co_u32 v80, vcc_lo, s0, v18
	v_add_co_ci_u32_e64 v81, null, s1, v19, vcc_lo
	v_add_co_u32 v80, vcc_lo, v80, v48
	v_add_co_ci_u32_e64 v81, null, 0, v81, vcc_lo
	s_waitcnt vmcnt(0)
	ds_write_b128 v51, v[96:99]
	global_load_dwordx4 v[96:99], v[80:81], off
	v_add_co_u32 v80, vcc_lo, s0, v20
	v_add_co_ci_u32_e64 v81, null, s1, v21, vcc_lo
	v_add_co_u32 v80, vcc_lo, v80, v48
	v_add_co_ci_u32_e64 v81, null, 0, v81, vcc_lo
	s_waitcnt vmcnt(0)
	ds_write_b128 v52, v[96:99]
	global_load_dwordx4 v[96:99], v[80:81], off
	v_add_co_u32 v80, vcc_lo, s0, v22
	v_add_co_ci_u32_e64 v81, null, s1, v23, vcc_lo
	s_or_b32 s0, s9, 0x60
	v_add_co_u32 v80, vcc_lo, v80, v48
	v_add_co_ci_u32_e64 v81, null, 0, v81, vcc_lo
	s_mul_hi_i32 s1, s0, s14
	s_mul_i32 s0, s0, s14
	s_lshl_b64 s[0:1], s[0:1], 2
	s_add_u32 s0, s12, s0
	s_addc_u32 s1, s13, s1
	s_waitcnt vmcnt(0)
	ds_write_b128 v53, v[96:99]
	global_load_dwordx4 v[96:99], v[80:81], off
	s_waitcnt vmcnt(0)
	ds_write_b128 v54, v[96:99]
	s_waitcnt lgkmcnt(0)
	s_barrier
	buffer_gl0_inv
	ds_read_b128 v[96:99], v50 offset:512
	ds_read2_b64 v[100:103], v58 offset1:32
	s_waitcnt lgkmcnt(1)
	v_mul_u32_u24_sdwa v80, v96, v57 dst_sel:DWORD dst_unused:UNUSED_PAD src0_sel:WORD_0 src1_sel:DWORD
	s_waitcnt lgkmcnt(0)
	v_pk_fma_f16 v76, v100, v80, v76
	v_pk_fma_f16 v77, v101, v80, v77
	;; [unrolled: 1-line block ×4, first 2 shown]
	v_mul_u32_u24_sdwa v80, v96, v57 dst_sel:DWORD dst_unused:UNUSED_PAD src0_sel:WORD_1 src1_sel:DWORD
	v_pk_fma_f16 v72, v100, v80, v72
	v_pk_fma_f16 v73, v101, v80, v73
	;; [unrolled: 1-line block ×4, first 2 shown]
	v_mul_u32_u24_sdwa v80, v97, v57 dst_sel:DWORD dst_unused:UNUSED_PAD src0_sel:WORD_0 src1_sel:DWORD
	v_pk_fma_f16 v81, v100, v80, v68
	v_mul_u32_u24_sdwa v68, v97, v57 dst_sel:DWORD dst_unused:UNUSED_PAD src0_sel:WORD_1 src1_sel:DWORD
	v_pk_fma_f16 v96, v101, v80, v69
	v_pk_fma_f16 v70, v102, v80, v70
	;; [unrolled: 1-line block ×7, first 2 shown]
	ds_read2_b64 v[66:69], v58 offset0:64 offset1:96
	v_mul_u32_u24_sdwa v100, v98, v57 dst_sel:DWORD dst_unused:UNUSED_PAD src0_sel:WORD_0 src1_sel:DWORD
	v_mul_u32_u24_sdwa v98, v98, v57 dst_sel:DWORD dst_unused:UNUSED_PAD src0_sel:WORD_1 src1_sel:DWORD
	v_mul_u32_u24_sdwa v101, v99, v57 dst_sel:DWORD dst_unused:UNUSED_PAD src0_sel:WORD_0 src1_sel:DWORD
	v_mul_u32_u24_sdwa v99, v99, v57 dst_sel:DWORD dst_unused:UNUSED_PAD src0_sel:WORD_1 src1_sel:DWORD
	s_waitcnt lgkmcnt(0)
	v_pk_fma_f16 v76, v66, v100, v76
	v_pk_fma_f16 v77, v67, v100, v77
	;; [unrolled: 1-line block ×16, first 2 shown]
	ds_read_b128 v[66:69], v50 offset:528
	ds_read2_b64 v[70:73], v58 offset0:128 offset1:160
	s_waitcnt lgkmcnt(1)
	v_mul_u32_u24_sdwa v99, v66, v57 dst_sel:DWORD dst_unused:UNUSED_PAD src0_sel:WORD_0 src1_sel:DWORD
	v_mul_u32_u24_sdwa v66, v66, v57 dst_sel:DWORD dst_unused:UNUSED_PAD src0_sel:WORD_1 src1_sel:DWORD
	s_waitcnt lgkmcnt(0)
	v_pk_fma_f16 v76, v70, v99, v76
	v_pk_fma_f16 v77, v71, v99, v77
	;; [unrolled: 1-line block ×8, first 2 shown]
	v_mul_u32_u24_sdwa v66, v67, v57 dst_sel:DWORD dst_unused:UNUSED_PAD src0_sel:WORD_0 src1_sel:DWORD
	v_pk_fma_f16 v81, v70, v66, v81
	v_pk_fma_f16 v96, v71, v66, v96
	v_pk_fma_f16 v98, v72, v66, v98
	v_pk_fma_f16 v101, v73, v66, v101
	v_mul_u32_u24_sdwa v66, v67, v57 dst_sel:DWORD dst_unused:UNUSED_PAD src0_sel:WORD_1 src1_sel:DWORD
	v_pk_fma_f16 v24, v70, v66, v24
	v_pk_fma_f16 v25, v71, v66, v25
	;; [unrolled: 1-line block ×4, first 2 shown]
	v_mul_u32_u24_sdwa v72, v68, v57 dst_sel:DWORD dst_unused:UNUSED_PAD src0_sel:WORD_0 src1_sel:DWORD
	v_mul_u32_u24_sdwa v73, v68, v57 dst_sel:DWORD dst_unused:UNUSED_PAD src0_sel:WORD_1 src1_sel:DWORD
	v_mul_u32_u24_sdwa v80, v69, v57 dst_sel:DWORD dst_unused:UNUSED_PAD src0_sel:WORD_0 src1_sel:DWORD
	v_mul_u32_u24_sdwa v97, v69, v57 dst_sel:DWORD dst_unused:UNUSED_PAD src0_sel:WORD_1 src1_sel:DWORD
	ds_read2_b64 v[66:69], v58 offset0:192 offset1:224
	s_waitcnt lgkmcnt(0)
	v_pk_fma_f16 v76, v66, v72, v76
	v_pk_fma_f16 v77, v67, v72, v77
	;; [unrolled: 1-line block ×16, first 2 shown]
	ds_read_b128 v[66:69], v50 offset:544
	ds_read2_b64 v[70:73], v59 offset1:32
	s_waitcnt lgkmcnt(1)
	v_mul_u32_u24_sdwa v102, v66, v57 dst_sel:DWORD dst_unused:UNUSED_PAD src0_sel:WORD_0 src1_sel:DWORD
	v_mul_u32_u24_sdwa v66, v66, v57 dst_sel:DWORD dst_unused:UNUSED_PAD src0_sel:WORD_1 src1_sel:DWORD
	s_waitcnt lgkmcnt(0)
	v_pk_fma_f16 v76, v70, v102, v76
	v_pk_fma_f16 v99, v70, v66, v99
	;; [unrolled: 1-line block ×5, first 2 shown]
	v_mul_u32_u24_sdwa v66, v67, v57 dst_sel:DWORD dst_unused:UNUSED_PAD src0_sel:WORD_0 src1_sel:DWORD
	v_pk_fma_f16 v77, v71, v102, v77
	v_pk_fma_f16 v78, v72, v102, v78
	;; [unrolled: 1-line block ×7, first 2 shown]
	v_mul_u32_u24_sdwa v66, v67, v57 dst_sel:DWORD dst_unused:UNUSED_PAD src0_sel:WORD_1 src1_sel:DWORD
	v_pk_fma_f16 v24, v70, v66, v24
	v_pk_fma_f16 v25, v71, v66, v25
	;; [unrolled: 1-line block ×4, first 2 shown]
	v_mul_u32_u24_sdwa v72, v68, v57 dst_sel:DWORD dst_unused:UNUSED_PAD src0_sel:WORD_0 src1_sel:DWORD
	v_mul_u32_u24_sdwa v73, v68, v57 dst_sel:DWORD dst_unused:UNUSED_PAD src0_sel:WORD_1 src1_sel:DWORD
	v_mul_u32_u24_sdwa v97, v69, v57 dst_sel:DWORD dst_unused:UNUSED_PAD src0_sel:WORD_0 src1_sel:DWORD
	v_mul_u32_u24_sdwa v101, v69, v57 dst_sel:DWORD dst_unused:UNUSED_PAD src0_sel:WORD_1 src1_sel:DWORD
	ds_read2_b64 v[66:69], v59 offset0:64 offset1:96
	s_waitcnt lgkmcnt(0)
	v_pk_fma_f16 v76, v66, v72, v76
	v_pk_fma_f16 v77, v67, v72, v77
	;; [unrolled: 1-line block ×16, first 2 shown]
	ds_read_b128 v[66:69], v50 offset:560
	ds_read2_b64 v[70:73], v59 offset0:128 offset1:160
	s_waitcnt lgkmcnt(1)
	v_mul_u32_u24_sdwa v102, v66, v57 dst_sel:DWORD dst_unused:UNUSED_PAD src0_sel:WORD_0 src1_sel:DWORD
	v_mul_u32_u24_sdwa v66, v66, v57 dst_sel:DWORD dst_unused:UNUSED_PAD src0_sel:WORD_1 src1_sel:DWORD
	s_waitcnt lgkmcnt(0)
	v_pk_fma_f16 v76, v70, v102, v76
	v_pk_fma_f16 v99, v70, v66, v99
	;; [unrolled: 1-line block ×5, first 2 shown]
	v_mul_u32_u24_sdwa v66, v67, v57 dst_sel:DWORD dst_unused:UNUSED_PAD src0_sel:WORD_0 src1_sel:DWORD
	v_pk_fma_f16 v77, v71, v102, v77
	v_pk_fma_f16 v78, v72, v102, v78
	;; [unrolled: 1-line block ×7, first 2 shown]
	v_mul_u32_u24_sdwa v66, v67, v57 dst_sel:DWORD dst_unused:UNUSED_PAD src0_sel:WORD_1 src1_sel:DWORD
	v_pk_fma_f16 v24, v70, v66, v24
	v_pk_fma_f16 v25, v71, v66, v25
	;; [unrolled: 1-line block ×4, first 2 shown]
	v_mul_u32_u24_sdwa v72, v68, v57 dst_sel:DWORD dst_unused:UNUSED_PAD src0_sel:WORD_0 src1_sel:DWORD
	v_mul_u32_u24_sdwa v73, v68, v57 dst_sel:DWORD dst_unused:UNUSED_PAD src0_sel:WORD_1 src1_sel:DWORD
	v_mul_u32_u24_sdwa v97, v69, v57 dst_sel:DWORD dst_unused:UNUSED_PAD src0_sel:WORD_0 src1_sel:DWORD
	v_mul_u32_u24_sdwa v101, v69, v57 dst_sel:DWORD dst_unused:UNUSED_PAD src0_sel:WORD_1 src1_sel:DWORD
	ds_read2_b64 v[66:69], v59 offset0:192 offset1:224
	s_waitcnt lgkmcnt(0)
	v_pk_fma_f16 v76, v66, v72, v76
	v_pk_fma_f16 v77, v67, v72, v77
	;; [unrolled: 1-line block ×16, first 2 shown]
	ds_read_b128 v[66:69], v50 offset:576
	ds_read2_b64 v[70:73], v60 offset1:32
	s_waitcnt lgkmcnt(1)
	v_mul_u32_u24_sdwa v102, v66, v57 dst_sel:DWORD dst_unused:UNUSED_PAD src0_sel:WORD_0 src1_sel:DWORD
	v_mul_u32_u24_sdwa v66, v66, v57 dst_sel:DWORD dst_unused:UNUSED_PAD src0_sel:WORD_1 src1_sel:DWORD
	s_waitcnt lgkmcnt(0)
	v_pk_fma_f16 v76, v70, v102, v76
	v_pk_fma_f16 v99, v70, v66, v99
	v_pk_fma_f16 v100, v71, v66, v100
	v_pk_fma_f16 v74, v72, v66, v74
	v_pk_fma_f16 v75, v73, v66, v75
	v_mul_u32_u24_sdwa v66, v67, v57 dst_sel:DWORD dst_unused:UNUSED_PAD src0_sel:WORD_0 src1_sel:DWORD
	v_pk_fma_f16 v77, v71, v102, v77
	v_pk_fma_f16 v78, v72, v102, v78
	;; [unrolled: 1-line block ×7, first 2 shown]
	v_mul_u32_u24_sdwa v66, v67, v57 dst_sel:DWORD dst_unused:UNUSED_PAD src0_sel:WORD_1 src1_sel:DWORD
	v_pk_fma_f16 v24, v70, v66, v24
	v_pk_fma_f16 v25, v71, v66, v25
	;; [unrolled: 1-line block ×4, first 2 shown]
	v_mul_u32_u24_sdwa v72, v68, v57 dst_sel:DWORD dst_unused:UNUSED_PAD src0_sel:WORD_0 src1_sel:DWORD
	v_mul_u32_u24_sdwa v73, v68, v57 dst_sel:DWORD dst_unused:UNUSED_PAD src0_sel:WORD_1 src1_sel:DWORD
	v_mul_u32_u24_sdwa v97, v69, v57 dst_sel:DWORD dst_unused:UNUSED_PAD src0_sel:WORD_0 src1_sel:DWORD
	v_mul_u32_u24_sdwa v101, v69, v57 dst_sel:DWORD dst_unused:UNUSED_PAD src0_sel:WORD_1 src1_sel:DWORD
	ds_read2_b64 v[66:69], v60 offset0:64 offset1:96
	s_waitcnt lgkmcnt(0)
	v_pk_fma_f16 v76, v66, v72, v76
	v_pk_fma_f16 v77, v67, v72, v77
	;; [unrolled: 1-line block ×16, first 2 shown]
	ds_read_b128 v[66:69], v50 offset:592
	ds_read2_b64 v[70:73], v60 offset0:128 offset1:160
	s_waitcnt lgkmcnt(1)
	v_mul_u32_u24_sdwa v102, v66, v57 dst_sel:DWORD dst_unused:UNUSED_PAD src0_sel:WORD_0 src1_sel:DWORD
	v_mul_u32_u24_sdwa v66, v66, v57 dst_sel:DWORD dst_unused:UNUSED_PAD src0_sel:WORD_1 src1_sel:DWORD
	s_waitcnt lgkmcnt(0)
	v_pk_fma_f16 v76, v70, v102, v76
	v_pk_fma_f16 v99, v70, v66, v99
	;; [unrolled: 1-line block ×5, first 2 shown]
	v_mul_u32_u24_sdwa v66, v67, v57 dst_sel:DWORD dst_unused:UNUSED_PAD src0_sel:WORD_0 src1_sel:DWORD
	v_pk_fma_f16 v77, v71, v102, v77
	v_pk_fma_f16 v78, v72, v102, v78
	;; [unrolled: 1-line block ×7, first 2 shown]
	v_mul_u32_u24_sdwa v66, v67, v57 dst_sel:DWORD dst_unused:UNUSED_PAD src0_sel:WORD_1 src1_sel:DWORD
	v_pk_fma_f16 v24, v70, v66, v24
	v_pk_fma_f16 v25, v71, v66, v25
	;; [unrolled: 1-line block ×4, first 2 shown]
	v_mul_u32_u24_sdwa v72, v68, v57 dst_sel:DWORD dst_unused:UNUSED_PAD src0_sel:WORD_0 src1_sel:DWORD
	v_mul_u32_u24_sdwa v73, v68, v57 dst_sel:DWORD dst_unused:UNUSED_PAD src0_sel:WORD_1 src1_sel:DWORD
	v_mul_u32_u24_sdwa v97, v69, v57 dst_sel:DWORD dst_unused:UNUSED_PAD src0_sel:WORD_0 src1_sel:DWORD
	v_mul_u32_u24_sdwa v101, v69, v57 dst_sel:DWORD dst_unused:UNUSED_PAD src0_sel:WORD_1 src1_sel:DWORD
	ds_read2_b64 v[66:69], v60 offset0:192 offset1:224
	s_waitcnt lgkmcnt(0)
	v_pk_fma_f16 v76, v66, v72, v76
	v_pk_fma_f16 v77, v67, v72, v77
	;; [unrolled: 1-line block ×16, first 2 shown]
	ds_read_b128 v[66:69], v50 offset:608
	ds_read2_b64 v[70:73], v61 offset1:32
	s_waitcnt lgkmcnt(1)
	v_mul_u32_u24_sdwa v102, v66, v57 dst_sel:DWORD dst_unused:UNUSED_PAD src0_sel:WORD_0 src1_sel:DWORD
	v_mul_u32_u24_sdwa v66, v66, v57 dst_sel:DWORD dst_unused:UNUSED_PAD src0_sel:WORD_1 src1_sel:DWORD
	s_waitcnt lgkmcnt(0)
	v_pk_fma_f16 v76, v70, v102, v76
	v_pk_fma_f16 v99, v70, v66, v99
	;; [unrolled: 1-line block ×5, first 2 shown]
	v_mul_u32_u24_sdwa v66, v67, v57 dst_sel:DWORD dst_unused:UNUSED_PAD src0_sel:WORD_0 src1_sel:DWORD
	v_pk_fma_f16 v77, v71, v102, v77
	v_pk_fma_f16 v78, v72, v102, v78
	v_pk_fma_f16 v79, v73, v102, v79
	v_pk_fma_f16 v81, v70, v66, v81
	v_pk_fma_f16 v96, v71, v66, v96
	v_pk_fma_f16 v98, v72, v66, v98
	v_pk_fma_f16 v80, v73, v66, v80
	v_mul_u32_u24_sdwa v66, v67, v57 dst_sel:DWORD dst_unused:UNUSED_PAD src0_sel:WORD_1 src1_sel:DWORD
	v_pk_fma_f16 v24, v70, v66, v24
	v_pk_fma_f16 v25, v71, v66, v25
	;; [unrolled: 1-line block ×4, first 2 shown]
	v_mul_u32_u24_sdwa v72, v68, v57 dst_sel:DWORD dst_unused:UNUSED_PAD src0_sel:WORD_0 src1_sel:DWORD
	v_mul_u32_u24_sdwa v73, v68, v57 dst_sel:DWORD dst_unused:UNUSED_PAD src0_sel:WORD_1 src1_sel:DWORD
	v_mul_u32_u24_sdwa v97, v69, v57 dst_sel:DWORD dst_unused:UNUSED_PAD src0_sel:WORD_0 src1_sel:DWORD
	v_mul_u32_u24_sdwa v101, v69, v57 dst_sel:DWORD dst_unused:UNUSED_PAD src0_sel:WORD_1 src1_sel:DWORD
	ds_read2_b64 v[66:69], v61 offset0:64 offset1:96
	s_waitcnt lgkmcnt(0)
	v_pk_fma_f16 v76, v66, v72, v76
	v_pk_fma_f16 v77, v67, v72, v77
	v_pk_fma_f16 v78, v68, v72, v78
	v_pk_fma_f16 v79, v69, v72, v79
	v_pk_fma_f16 v99, v66, v73, v99
	v_pk_fma_f16 v100, v67, v73, v100
	v_pk_fma_f16 v74, v68, v73, v74
	v_pk_fma_f16 v75, v69, v73, v75
	v_pk_fma_f16 v81, v66, v97, v81
	v_pk_fma_f16 v96, v67, v97, v96
	v_pk_fma_f16 v98, v68, v97, v98
	v_pk_fma_f16 v80, v69, v97, v80
	v_pk_fma_f16 v24, v66, v101, v24
	v_pk_fma_f16 v25, v67, v101, v25
	v_pk_fma_f16 v97, v68, v101, v70
	v_pk_fma_f16 v101, v69, v101, v71
	ds_read_b128 v[66:69], v50 offset:624
	ds_read2_b64 v[70:73], v61 offset0:128 offset1:160
	s_waitcnt lgkmcnt(1)
	v_mul_u32_u24_sdwa v102, v66, v57 dst_sel:DWORD dst_unused:UNUSED_PAD src0_sel:WORD_0 src1_sel:DWORD
	v_mul_u32_u24_sdwa v66, v66, v57 dst_sel:DWORD dst_unused:UNUSED_PAD src0_sel:WORD_1 src1_sel:DWORD
	s_waitcnt lgkmcnt(0)
	v_pk_fma_f16 v76, v70, v102, v76
	v_pk_fma_f16 v99, v70, v66, v99
	;; [unrolled: 1-line block ×5, first 2 shown]
	v_mul_u32_u24_sdwa v66, v67, v57 dst_sel:DWORD dst_unused:UNUSED_PAD src0_sel:WORD_0 src1_sel:DWORD
	v_pk_fma_f16 v77, v71, v102, v77
	v_pk_fma_f16 v78, v72, v102, v78
	;; [unrolled: 1-line block ×7, first 2 shown]
	v_mul_u32_u24_sdwa v66, v67, v57 dst_sel:DWORD dst_unused:UNUSED_PAD src0_sel:WORD_1 src1_sel:DWORD
	v_pk_fma_f16 v24, v70, v66, v24
	v_pk_fma_f16 v25, v71, v66, v25
	;; [unrolled: 1-line block ×4, first 2 shown]
	v_mul_u32_u24_sdwa v72, v68, v57 dst_sel:DWORD dst_unused:UNUSED_PAD src0_sel:WORD_0 src1_sel:DWORD
	v_mul_u32_u24_sdwa v73, v68, v57 dst_sel:DWORD dst_unused:UNUSED_PAD src0_sel:WORD_1 src1_sel:DWORD
	v_mul_u32_u24_sdwa v97, v69, v57 dst_sel:DWORD dst_unused:UNUSED_PAD src0_sel:WORD_0 src1_sel:DWORD
	v_mul_u32_u24_sdwa v101, v69, v57 dst_sel:DWORD dst_unused:UNUSED_PAD src0_sel:WORD_1 src1_sel:DWORD
	ds_read2_b64 v[66:69], v61 offset0:192 offset1:224
	s_waitcnt lgkmcnt(0)
	v_pk_fma_f16 v76, v66, v72, v76
	v_pk_fma_f16 v77, v67, v72, v77
	;; [unrolled: 1-line block ×16, first 2 shown]
	ds_read_b128 v[66:69], v50 offset:640
	ds_read2_b64 v[70:73], v62 offset1:32
	s_waitcnt lgkmcnt(1)
	v_mul_u32_u24_sdwa v102, v66, v57 dst_sel:DWORD dst_unused:UNUSED_PAD src0_sel:WORD_0 src1_sel:DWORD
	v_mul_u32_u24_sdwa v66, v66, v57 dst_sel:DWORD dst_unused:UNUSED_PAD src0_sel:WORD_1 src1_sel:DWORD
	s_waitcnt lgkmcnt(0)
	v_pk_fma_f16 v76, v70, v102, v76
	v_pk_fma_f16 v99, v70, v66, v99
	;; [unrolled: 1-line block ×5, first 2 shown]
	v_mul_u32_u24_sdwa v66, v67, v57 dst_sel:DWORD dst_unused:UNUSED_PAD src0_sel:WORD_0 src1_sel:DWORD
	v_pk_fma_f16 v77, v71, v102, v77
	v_pk_fma_f16 v78, v72, v102, v78
	;; [unrolled: 1-line block ×7, first 2 shown]
	v_mul_u32_u24_sdwa v66, v67, v57 dst_sel:DWORD dst_unused:UNUSED_PAD src0_sel:WORD_1 src1_sel:DWORD
	v_pk_fma_f16 v24, v70, v66, v24
	v_pk_fma_f16 v25, v71, v66, v25
	;; [unrolled: 1-line block ×4, first 2 shown]
	v_mul_u32_u24_sdwa v72, v68, v57 dst_sel:DWORD dst_unused:UNUSED_PAD src0_sel:WORD_0 src1_sel:DWORD
	v_mul_u32_u24_sdwa v73, v68, v57 dst_sel:DWORD dst_unused:UNUSED_PAD src0_sel:WORD_1 src1_sel:DWORD
	v_mul_u32_u24_sdwa v97, v69, v57 dst_sel:DWORD dst_unused:UNUSED_PAD src0_sel:WORD_0 src1_sel:DWORD
	v_mul_u32_u24_sdwa v101, v69, v57 dst_sel:DWORD dst_unused:UNUSED_PAD src0_sel:WORD_1 src1_sel:DWORD
	ds_read2_b64 v[66:69], v62 offset0:64 offset1:96
	s_waitcnt lgkmcnt(0)
	v_pk_fma_f16 v76, v66, v72, v76
	v_pk_fma_f16 v77, v67, v72, v77
	;; [unrolled: 1-line block ×16, first 2 shown]
	ds_read_b128 v[66:69], v50 offset:656
	ds_read2_b64 v[70:73], v62 offset0:128 offset1:160
	s_waitcnt lgkmcnt(1)
	v_mul_u32_u24_sdwa v102, v66, v57 dst_sel:DWORD dst_unused:UNUSED_PAD src0_sel:WORD_0 src1_sel:DWORD
	v_mul_u32_u24_sdwa v66, v66, v57 dst_sel:DWORD dst_unused:UNUSED_PAD src0_sel:WORD_1 src1_sel:DWORD
	s_waitcnt lgkmcnt(0)
	v_pk_fma_f16 v76, v70, v102, v76
	v_pk_fma_f16 v99, v70, v66, v99
	;; [unrolled: 1-line block ×5, first 2 shown]
	v_mul_u32_u24_sdwa v66, v67, v57 dst_sel:DWORD dst_unused:UNUSED_PAD src0_sel:WORD_0 src1_sel:DWORD
	v_pk_fma_f16 v77, v71, v102, v77
	v_pk_fma_f16 v78, v72, v102, v78
	;; [unrolled: 1-line block ×7, first 2 shown]
	v_mul_u32_u24_sdwa v66, v67, v57 dst_sel:DWORD dst_unused:UNUSED_PAD src0_sel:WORD_1 src1_sel:DWORD
	v_pk_fma_f16 v24, v70, v66, v24
	v_pk_fma_f16 v25, v71, v66, v25
	;; [unrolled: 1-line block ×4, first 2 shown]
	v_mul_u32_u24_sdwa v72, v68, v57 dst_sel:DWORD dst_unused:UNUSED_PAD src0_sel:WORD_0 src1_sel:DWORD
	v_mul_u32_u24_sdwa v73, v68, v57 dst_sel:DWORD dst_unused:UNUSED_PAD src0_sel:WORD_1 src1_sel:DWORD
	v_mul_u32_u24_sdwa v97, v69, v57 dst_sel:DWORD dst_unused:UNUSED_PAD src0_sel:WORD_0 src1_sel:DWORD
	v_mul_u32_u24_sdwa v101, v69, v57 dst_sel:DWORD dst_unused:UNUSED_PAD src0_sel:WORD_1 src1_sel:DWORD
	ds_read2_b64 v[66:69], v62 offset0:192 offset1:224
	s_waitcnt lgkmcnt(0)
	v_pk_fma_f16 v76, v66, v72, v76
	v_pk_fma_f16 v77, v67, v72, v77
	;; [unrolled: 1-line block ×16, first 2 shown]
	ds_read_b128 v[66:69], v50 offset:672
	ds_read2_b64 v[70:73], v63 offset1:32
	s_waitcnt lgkmcnt(1)
	v_mul_u32_u24_sdwa v102, v66, v57 dst_sel:DWORD dst_unused:UNUSED_PAD src0_sel:WORD_0 src1_sel:DWORD
	v_mul_u32_u24_sdwa v66, v66, v57 dst_sel:DWORD dst_unused:UNUSED_PAD src0_sel:WORD_1 src1_sel:DWORD
	s_waitcnt lgkmcnt(0)
	v_pk_fma_f16 v76, v70, v102, v76
	v_pk_fma_f16 v99, v70, v66, v99
	;; [unrolled: 1-line block ×5, first 2 shown]
	v_mul_u32_u24_sdwa v66, v67, v57 dst_sel:DWORD dst_unused:UNUSED_PAD src0_sel:WORD_0 src1_sel:DWORD
	v_pk_fma_f16 v77, v71, v102, v77
	v_pk_fma_f16 v78, v72, v102, v78
	;; [unrolled: 1-line block ×7, first 2 shown]
	v_mul_u32_u24_sdwa v66, v67, v57 dst_sel:DWORD dst_unused:UNUSED_PAD src0_sel:WORD_1 src1_sel:DWORD
	v_pk_fma_f16 v24, v70, v66, v24
	v_pk_fma_f16 v25, v71, v66, v25
	;; [unrolled: 1-line block ×4, first 2 shown]
	v_mul_u32_u24_sdwa v72, v68, v57 dst_sel:DWORD dst_unused:UNUSED_PAD src0_sel:WORD_0 src1_sel:DWORD
	v_mul_u32_u24_sdwa v73, v68, v57 dst_sel:DWORD dst_unused:UNUSED_PAD src0_sel:WORD_1 src1_sel:DWORD
	v_mul_u32_u24_sdwa v97, v69, v57 dst_sel:DWORD dst_unused:UNUSED_PAD src0_sel:WORD_0 src1_sel:DWORD
	v_mul_u32_u24_sdwa v101, v69, v57 dst_sel:DWORD dst_unused:UNUSED_PAD src0_sel:WORD_1 src1_sel:DWORD
	ds_read2_b64 v[66:69], v63 offset0:64 offset1:96
	s_waitcnt lgkmcnt(0)
	v_pk_fma_f16 v76, v66, v72, v76
	v_pk_fma_f16 v77, v67, v72, v77
	;; [unrolled: 1-line block ×16, first 2 shown]
	ds_read_b128 v[66:69], v50 offset:688
	ds_read2_b64 v[70:73], v63 offset0:128 offset1:160
	s_waitcnt lgkmcnt(1)
	v_mul_u32_u24_sdwa v102, v66, v57 dst_sel:DWORD dst_unused:UNUSED_PAD src0_sel:WORD_0 src1_sel:DWORD
	v_mul_u32_u24_sdwa v66, v66, v57 dst_sel:DWORD dst_unused:UNUSED_PAD src0_sel:WORD_1 src1_sel:DWORD
	s_waitcnt lgkmcnt(0)
	v_pk_fma_f16 v76, v70, v102, v76
	v_pk_fma_f16 v99, v70, v66, v99
	;; [unrolled: 1-line block ×5, first 2 shown]
	v_mul_u32_u24_sdwa v66, v67, v57 dst_sel:DWORD dst_unused:UNUSED_PAD src0_sel:WORD_0 src1_sel:DWORD
	v_pk_fma_f16 v77, v71, v102, v77
	v_pk_fma_f16 v78, v72, v102, v78
	;; [unrolled: 1-line block ×7, first 2 shown]
	v_mul_u32_u24_sdwa v66, v67, v57 dst_sel:DWORD dst_unused:UNUSED_PAD src0_sel:WORD_1 src1_sel:DWORD
	v_pk_fma_f16 v24, v70, v66, v24
	v_pk_fma_f16 v25, v71, v66, v25
	;; [unrolled: 1-line block ×4, first 2 shown]
	v_mul_u32_u24_sdwa v72, v68, v57 dst_sel:DWORD dst_unused:UNUSED_PAD src0_sel:WORD_0 src1_sel:DWORD
	v_mul_u32_u24_sdwa v73, v68, v57 dst_sel:DWORD dst_unused:UNUSED_PAD src0_sel:WORD_1 src1_sel:DWORD
	v_mul_u32_u24_sdwa v97, v69, v57 dst_sel:DWORD dst_unused:UNUSED_PAD src0_sel:WORD_0 src1_sel:DWORD
	v_mul_u32_u24_sdwa v101, v69, v57 dst_sel:DWORD dst_unused:UNUSED_PAD src0_sel:WORD_1 src1_sel:DWORD
	ds_read2_b64 v[66:69], v63 offset0:192 offset1:224
	s_waitcnt lgkmcnt(0)
	v_pk_fma_f16 v76, v66, v72, v76
	v_pk_fma_f16 v77, v67, v72, v77
	v_pk_fma_f16 v78, v68, v72, v78
	v_pk_fma_f16 v79, v69, v72, v79
	v_pk_fma_f16 v99, v66, v73, v99
	v_pk_fma_f16 v100, v67, v73, v100
	v_pk_fma_f16 v74, v68, v73, v74
	v_pk_fma_f16 v75, v69, v73, v75
	v_pk_fma_f16 v81, v66, v97, v81
	v_pk_fma_f16 v96, v67, v97, v96
	v_pk_fma_f16 v98, v68, v97, v98
	v_pk_fma_f16 v80, v69, v97, v80
	v_pk_fma_f16 v24, v66, v101, v24
	v_pk_fma_f16 v25, v67, v101, v25
	v_pk_fma_f16 v97, v68, v101, v70
	v_pk_fma_f16 v101, v69, v101, v71
	ds_read_b128 v[66:69], v50 offset:704
	ds_read2_b64 v[70:73], v64 offset1:32
	s_waitcnt lgkmcnt(1)
	v_mul_u32_u24_sdwa v102, v66, v57 dst_sel:DWORD dst_unused:UNUSED_PAD src0_sel:WORD_0 src1_sel:DWORD
	v_mul_u32_u24_sdwa v66, v66, v57 dst_sel:DWORD dst_unused:UNUSED_PAD src0_sel:WORD_1 src1_sel:DWORD
	s_waitcnt lgkmcnt(0)
	v_pk_fma_f16 v76, v70, v102, v76
	v_pk_fma_f16 v99, v70, v66, v99
	;; [unrolled: 1-line block ×5, first 2 shown]
	v_mul_u32_u24_sdwa v66, v67, v57 dst_sel:DWORD dst_unused:UNUSED_PAD src0_sel:WORD_0 src1_sel:DWORD
	v_pk_fma_f16 v77, v71, v102, v77
	v_pk_fma_f16 v78, v72, v102, v78
	v_pk_fma_f16 v79, v73, v102, v79
	v_pk_fma_f16 v81, v70, v66, v81
	v_pk_fma_f16 v96, v71, v66, v96
	v_pk_fma_f16 v98, v72, v66, v98
	v_pk_fma_f16 v80, v73, v66, v80
	v_mul_u32_u24_sdwa v66, v67, v57 dst_sel:DWORD dst_unused:UNUSED_PAD src0_sel:WORD_1 src1_sel:DWORD
	v_pk_fma_f16 v24, v70, v66, v24
	v_pk_fma_f16 v25, v71, v66, v25
	;; [unrolled: 1-line block ×4, first 2 shown]
	v_mul_u32_u24_sdwa v72, v68, v57 dst_sel:DWORD dst_unused:UNUSED_PAD src0_sel:WORD_0 src1_sel:DWORD
	v_mul_u32_u24_sdwa v73, v68, v57 dst_sel:DWORD dst_unused:UNUSED_PAD src0_sel:WORD_1 src1_sel:DWORD
	v_mul_u32_u24_sdwa v97, v69, v57 dst_sel:DWORD dst_unused:UNUSED_PAD src0_sel:WORD_0 src1_sel:DWORD
	v_mul_u32_u24_sdwa v101, v69, v57 dst_sel:DWORD dst_unused:UNUSED_PAD src0_sel:WORD_1 src1_sel:DWORD
	ds_read2_b64 v[66:69], v64 offset0:64 offset1:96
	s_waitcnt lgkmcnt(0)
	v_pk_fma_f16 v76, v66, v72, v76
	v_pk_fma_f16 v77, v67, v72, v77
	;; [unrolled: 1-line block ×16, first 2 shown]
	ds_read_b128 v[66:69], v50 offset:720
	ds_read2_b64 v[70:73], v64 offset0:128 offset1:160
	s_waitcnt lgkmcnt(1)
	v_mul_u32_u24_sdwa v102, v66, v57 dst_sel:DWORD dst_unused:UNUSED_PAD src0_sel:WORD_0 src1_sel:DWORD
	v_mul_u32_u24_sdwa v66, v66, v57 dst_sel:DWORD dst_unused:UNUSED_PAD src0_sel:WORD_1 src1_sel:DWORD
	s_waitcnt lgkmcnt(0)
	v_pk_fma_f16 v76, v70, v102, v76
	v_pk_fma_f16 v99, v70, v66, v99
	;; [unrolled: 1-line block ×5, first 2 shown]
	v_mul_u32_u24_sdwa v66, v67, v57 dst_sel:DWORD dst_unused:UNUSED_PAD src0_sel:WORD_0 src1_sel:DWORD
	v_pk_fma_f16 v77, v71, v102, v77
	v_pk_fma_f16 v78, v72, v102, v78
	v_pk_fma_f16 v79, v73, v102, v79
	v_pk_fma_f16 v81, v70, v66, v81
	v_pk_fma_f16 v96, v71, v66, v96
	v_pk_fma_f16 v98, v72, v66, v98
	v_pk_fma_f16 v80, v73, v66, v80
	v_mul_u32_u24_sdwa v66, v67, v57 dst_sel:DWORD dst_unused:UNUSED_PAD src0_sel:WORD_1 src1_sel:DWORD
	v_pk_fma_f16 v24, v70, v66, v24
	v_pk_fma_f16 v25, v71, v66, v25
	;; [unrolled: 1-line block ×4, first 2 shown]
	v_mul_u32_u24_sdwa v72, v68, v57 dst_sel:DWORD dst_unused:UNUSED_PAD src0_sel:WORD_0 src1_sel:DWORD
	v_mul_u32_u24_sdwa v73, v68, v57 dst_sel:DWORD dst_unused:UNUSED_PAD src0_sel:WORD_1 src1_sel:DWORD
	v_mul_u32_u24_sdwa v97, v69, v57 dst_sel:DWORD dst_unused:UNUSED_PAD src0_sel:WORD_0 src1_sel:DWORD
	v_mul_u32_u24_sdwa v101, v69, v57 dst_sel:DWORD dst_unused:UNUSED_PAD src0_sel:WORD_1 src1_sel:DWORD
	ds_read2_b64 v[66:69], v64 offset0:192 offset1:224
	s_waitcnt lgkmcnt(0)
	v_pk_fma_f16 v76, v66, v72, v76
	v_pk_fma_f16 v77, v67, v72, v77
	;; [unrolled: 1-line block ×16, first 2 shown]
	ds_read_b128 v[66:69], v50 offset:736
	ds_read2_b64 v[70:73], v65 offset1:32
	s_waitcnt lgkmcnt(1)
	v_mul_u32_u24_sdwa v102, v66, v57 dst_sel:DWORD dst_unused:UNUSED_PAD src0_sel:WORD_0 src1_sel:DWORD
	v_mul_u32_u24_sdwa v66, v66, v57 dst_sel:DWORD dst_unused:UNUSED_PAD src0_sel:WORD_1 src1_sel:DWORD
	s_waitcnt lgkmcnt(0)
	v_pk_fma_f16 v76, v70, v102, v76
	v_pk_fma_f16 v99, v70, v66, v99
	v_pk_fma_f16 v100, v71, v66, v100
	v_pk_fma_f16 v74, v72, v66, v74
	v_pk_fma_f16 v75, v73, v66, v75
	v_mul_u32_u24_sdwa v66, v67, v57 dst_sel:DWORD dst_unused:UNUSED_PAD src0_sel:WORD_0 src1_sel:DWORD
	v_pk_fma_f16 v77, v71, v102, v77
	v_pk_fma_f16 v78, v72, v102, v78
	;; [unrolled: 1-line block ×7, first 2 shown]
	v_mul_u32_u24_sdwa v66, v67, v57 dst_sel:DWORD dst_unused:UNUSED_PAD src0_sel:WORD_1 src1_sel:DWORD
	v_pk_fma_f16 v24, v70, v66, v24
	v_pk_fma_f16 v25, v71, v66, v25
	v_pk_fma_f16 v70, v72, v66, v97
	v_pk_fma_f16 v71, v73, v66, v101
	v_mul_u32_u24_sdwa v72, v68, v57 dst_sel:DWORD dst_unused:UNUSED_PAD src0_sel:WORD_0 src1_sel:DWORD
	v_mul_u32_u24_sdwa v73, v68, v57 dst_sel:DWORD dst_unused:UNUSED_PAD src0_sel:WORD_1 src1_sel:DWORD
	v_mul_u32_u24_sdwa v97, v69, v57 dst_sel:DWORD dst_unused:UNUSED_PAD src0_sel:WORD_0 src1_sel:DWORD
	v_mul_u32_u24_sdwa v101, v69, v57 dst_sel:DWORD dst_unused:UNUSED_PAD src0_sel:WORD_1 src1_sel:DWORD
	ds_read2_b64 v[66:69], v65 offset0:64 offset1:96
	s_waitcnt lgkmcnt(0)
	v_pk_fma_f16 v76, v66, v72, v76
	v_pk_fma_f16 v77, v67, v72, v77
	;; [unrolled: 1-line block ×16, first 2 shown]
	ds_read_b128 v[66:69], v50 offset:752
	ds_read2_b64 v[70:73], v65 offset0:128 offset1:160
	s_waitcnt lgkmcnt(1)
	v_mul_u32_u24_sdwa v102, v66, v57 dst_sel:DWORD dst_unused:UNUSED_PAD src0_sel:WORD_0 src1_sel:DWORD
	v_mul_u32_u24_sdwa v66, v66, v57 dst_sel:DWORD dst_unused:UNUSED_PAD src0_sel:WORD_1 src1_sel:DWORD
	v_mul_u32_u24_sdwa v108, v69, v57 dst_sel:DWORD dst_unused:UNUSED_PAD src0_sel:WORD_1 src1_sel:DWORD
	s_waitcnt lgkmcnt(0)
	v_pk_fma_f16 v76, v70, v102, v76
	v_pk_fma_f16 v99, v70, v66, v99
	;; [unrolled: 1-line block ×5, first 2 shown]
	v_mul_u32_u24_sdwa v66, v67, v57 dst_sel:DWORD dst_unused:UNUSED_PAD src0_sel:WORD_0 src1_sel:DWORD
	v_pk_fma_f16 v77, v71, v102, v77
	v_pk_fma_f16 v103, v72, v102, v78
	;; [unrolled: 1-line block ×7, first 2 shown]
	v_mul_u32_u24_sdwa v66, v67, v57 dst_sel:DWORD dst_unused:UNUSED_PAD src0_sel:WORD_1 src1_sel:DWORD
	v_pk_fma_f16 v24, v70, v66, v24
	v_pk_fma_f16 v25, v71, v66, v25
	;; [unrolled: 1-line block ×4, first 2 shown]
	v_mul_u32_u24_sdwa v70, v68, v57 dst_sel:DWORD dst_unused:UNUSED_PAD src0_sel:WORD_0 src1_sel:DWORD
	v_mul_u32_u24_sdwa v71, v68, v57 dst_sel:DWORD dst_unused:UNUSED_PAD src0_sel:WORD_1 src1_sel:DWORD
	v_mul_u32_u24_sdwa v73, v69, v57 dst_sel:DWORD dst_unused:UNUSED_PAD src0_sel:WORD_0 src1_sel:DWORD
	ds_read2_b64 v[66:69], v65 offset0:192 offset1:224
	s_waitcnt lgkmcnt(0)
	s_barrier
	buffer_gl0_inv
	v_pk_fma_f16 v78, v66, v70, v76
	v_pk_fma_f16 v79, v67, v70, v77
	;; [unrolled: 1-line block ×7, first 2 shown]
	v_add_co_u32 v24, vcc_lo, s0, v16
	v_pk_fma_f16 v75, v67, v71, v100
	v_pk_fma_f16 v76, v68, v71, v104
	;; [unrolled: 1-line block ×5, first 2 shown]
	v_add_co_ci_u32_e64 v25, null, s1, v17, vcc_lo
	v_add_co_u32 v24, vcc_lo, v24, v48
	v_pk_fma_f16 v72, v68, v73, v98
	v_add_co_ci_u32_e64 v25, null, 0, v25, vcc_lo
	v_pk_fma_f16 v68, v68, v108, v97
	v_pk_fma_f16 v73, v69, v73, v107
	;; [unrolled: 1-line block ×3, first 2 shown]
	global_load_dwordx4 v[96:99], v[24:25], off
	v_add_co_u32 v24, vcc_lo, s0, v18
	v_add_co_ci_u32_e64 v25, null, s1, v19, vcc_lo
	v_add_co_u32 v24, vcc_lo, v24, v48
	v_add_co_ci_u32_e64 v25, null, 0, v25, vcc_lo
	s_waitcnt vmcnt(0)
	ds_write_b128 v51, v[96:99]
	global_load_dwordx4 v[96:99], v[24:25], off
	v_add_co_u32 v24, vcc_lo, s0, v20
	v_add_co_ci_u32_e64 v25, null, s1, v21, vcc_lo
	v_add_co_u32 v24, vcc_lo, v24, v48
	v_add_co_ci_u32_e64 v25, null, 0, v25, vcc_lo
	s_waitcnt vmcnt(0)
	ds_write_b128 v52, v[96:99]
	;; [unrolled: 7-line block ×3, first 2 shown]
	global_load_dwordx4 v[96:99], v[24:25], off
	s_waitcnt vmcnt(0)
	ds_write_b128 v54, v[96:99]
	s_waitcnt lgkmcnt(0)
	s_barrier
	buffer_gl0_inv
	ds_read_b128 v[96:99], v50 offset:768
	ds_read2_b64 v[100:103], v58 offset1:32
	s_waitcnt lgkmcnt(1)
	v_mul_u32_u24_sdwa v24, v96, v57 dst_sel:DWORD dst_unused:UNUSED_PAD src0_sel:WORD_0 src1_sel:DWORD
	s_waitcnt lgkmcnt(0)
	v_pk_fma_f16 v25, v100, v24, v78
	v_pk_fma_f16 v78, v101, v24, v79
	;; [unrolled: 1-line block ×3, first 2 shown]
	v_mul_u32_u24_sdwa v80, v96, v57 dst_sel:DWORD dst_unused:UNUSED_PAD src0_sel:WORD_1 src1_sel:DWORD
	v_pk_fma_f16 v24, v103, v24, v81
	v_pk_fma_f16 v74, v100, v80, v74
	;; [unrolled: 1-line block ×5, first 2 shown]
	v_mul_u32_u24_sdwa v80, v97, v57 dst_sel:DWORD dst_unused:UNUSED_PAD src0_sel:WORD_0 src1_sel:DWORD
	v_pk_fma_f16 v70, v100, v80, v70
	v_pk_fma_f16 v71, v101, v80, v71
	;; [unrolled: 1-line block ×4, first 2 shown]
	v_mul_u32_u24_sdwa v80, v97, v57 dst_sel:DWORD dst_unused:UNUSED_PAD src0_sel:WORD_1 src1_sel:DWORD
	v_pk_fma_f16 v81, v100, v80, v66
	v_pk_fma_f16 v96, v101, v80, v67
	v_pk_fma_f16 v97, v102, v80, v68
	v_pk_fma_f16 v80, v103, v80, v69
	ds_read2_b64 v[66:69], v58 offset0:64 offset1:96
	v_mul_u32_u24_sdwa v100, v98, v57 dst_sel:DWORD dst_unused:UNUSED_PAD src0_sel:WORD_0 src1_sel:DWORD
	v_mul_u32_u24_sdwa v98, v98, v57 dst_sel:DWORD dst_unused:UNUSED_PAD src0_sel:WORD_1 src1_sel:DWORD
	v_mul_u32_u24_sdwa v101, v99, v57 dst_sel:DWORD dst_unused:UNUSED_PAD src0_sel:WORD_0 src1_sel:DWORD
	v_mul_u32_u24_sdwa v99, v99, v57 dst_sel:DWORD dst_unused:UNUSED_PAD src0_sel:WORD_1 src1_sel:DWORD
	s_waitcnt lgkmcnt(0)
	v_pk_fma_f16 v25, v66, v100, v25
	v_pk_fma_f16 v78, v67, v100, v78
	;; [unrolled: 1-line block ×16, first 2 shown]
	ds_read_b128 v[66:69], v50 offset:784
	ds_read2_b64 v[70:73], v58 offset0:128 offset1:160
	s_waitcnt lgkmcnt(1)
	v_mul_u32_u24_sdwa v99, v66, v57 dst_sel:DWORD dst_unused:UNUSED_PAD src0_sel:WORD_0 src1_sel:DWORD
	v_mul_u32_u24_sdwa v66, v66, v57 dst_sel:DWORD dst_unused:UNUSED_PAD src0_sel:WORD_1 src1_sel:DWORD
	s_waitcnt lgkmcnt(0)
	v_pk_fma_f16 v25, v70, v99, v25
	v_pk_fma_f16 v74, v70, v66, v74
	;; [unrolled: 1-line block ×5, first 2 shown]
	v_mul_u32_u24_sdwa v66, v67, v57 dst_sel:DWORD dst_unused:UNUSED_PAD src0_sel:WORD_0 src1_sel:DWORD
	v_pk_fma_f16 v78, v71, v99, v78
	v_pk_fma_f16 v79, v72, v99, v79
	;; [unrolled: 1-line block ×7, first 2 shown]
	v_mul_u32_u24_sdwa v66, v67, v57 dst_sel:DWORD dst_unused:UNUSED_PAD src0_sel:WORD_1 src1_sel:DWORD
	v_pk_fma_f16 v70, v70, v66, v81
	v_pk_fma_f16 v71, v71, v66, v96
	;; [unrolled: 1-line block ×4, first 2 shown]
	v_mul_u32_u24_sdwa v80, v68, v57 dst_sel:DWORD dst_unused:UNUSED_PAD src0_sel:WORD_0 src1_sel:DWORD
	v_mul_u32_u24_sdwa v81, v68, v57 dst_sel:DWORD dst_unused:UNUSED_PAD src0_sel:WORD_1 src1_sel:DWORD
	v_mul_u32_u24_sdwa v96, v69, v57 dst_sel:DWORD dst_unused:UNUSED_PAD src0_sel:WORD_0 src1_sel:DWORD
	v_mul_u32_u24_sdwa v97, v69, v57 dst_sel:DWORD dst_unused:UNUSED_PAD src0_sel:WORD_1 src1_sel:DWORD
	ds_read2_b64 v[66:69], v58 offset0:192 offset1:224
	s_waitcnt lgkmcnt(0)
	v_pk_fma_f16 v25, v66, v80, v25
	v_pk_fma_f16 v78, v67, v80, v78
	v_pk_fma_f16 v79, v68, v80, v79
	v_pk_fma_f16 v24, v69, v80, v24
	v_pk_fma_f16 v74, v66, v81, v74
	v_pk_fma_f16 v75, v67, v81, v75
	v_pk_fma_f16 v76, v68, v81, v76
	v_pk_fma_f16 v77, v69, v81, v77
	v_pk_fma_f16 v80, v66, v96, v98
	v_pk_fma_f16 v81, v67, v96, v99
	v_pk_fma_f16 v98, v68, v96, v100
	v_pk_fma_f16 v96, v69, v96, v101
	v_pk_fma_f16 v99, v66, v97, v70
	v_pk_fma_f16 v100, v67, v97, v71
	v_pk_fma_f16 v101, v68, v97, v72
	v_pk_fma_f16 v97, v69, v97, v73
	ds_read_b128 v[66:69], v50 offset:800
	ds_read2_b64 v[70:73], v59 offset1:32
	s_waitcnt lgkmcnt(1)
	v_mul_u32_u24_sdwa v102, v66, v57 dst_sel:DWORD dst_unused:UNUSED_PAD src0_sel:WORD_0 src1_sel:DWORD
	v_mul_u32_u24_sdwa v66, v66, v57 dst_sel:DWORD dst_unused:UNUSED_PAD src0_sel:WORD_1 src1_sel:DWORD
	s_waitcnt lgkmcnt(0)
	v_pk_fma_f16 v25, v70, v102, v25
	v_pk_fma_f16 v74, v70, v66, v74
	;; [unrolled: 1-line block ×5, first 2 shown]
	v_mul_u32_u24_sdwa v66, v67, v57 dst_sel:DWORD dst_unused:UNUSED_PAD src0_sel:WORD_0 src1_sel:DWORD
	v_pk_fma_f16 v78, v71, v102, v78
	v_pk_fma_f16 v79, v72, v102, v79
	;; [unrolled: 1-line block ×7, first 2 shown]
	v_mul_u32_u24_sdwa v66, v67, v57 dst_sel:DWORD dst_unused:UNUSED_PAD src0_sel:WORD_1 src1_sel:DWORD
	v_pk_fma_f16 v70, v70, v66, v99
	v_pk_fma_f16 v71, v71, v66, v100
	;; [unrolled: 1-line block ×4, first 2 shown]
	v_mul_u32_u24_sdwa v97, v68, v57 dst_sel:DWORD dst_unused:UNUSED_PAD src0_sel:WORD_0 src1_sel:DWORD
	v_mul_u32_u24_sdwa v99, v68, v57 dst_sel:DWORD dst_unused:UNUSED_PAD src0_sel:WORD_1 src1_sel:DWORD
	v_mul_u32_u24_sdwa v100, v69, v57 dst_sel:DWORD dst_unused:UNUSED_PAD src0_sel:WORD_0 src1_sel:DWORD
	v_mul_u32_u24_sdwa v101, v69, v57 dst_sel:DWORD dst_unused:UNUSED_PAD src0_sel:WORD_1 src1_sel:DWORD
	ds_read2_b64 v[66:69], v59 offset0:64 offset1:96
	s_waitcnt lgkmcnt(0)
	v_pk_fma_f16 v25, v66, v97, v25
	v_pk_fma_f16 v78, v67, v97, v78
	;; [unrolled: 1-line block ×16, first 2 shown]
	ds_read_b128 v[66:69], v50 offset:816
	ds_read2_b64 v[70:73], v59 offset0:128 offset1:160
	s_waitcnt lgkmcnt(1)
	v_mul_u32_u24_sdwa v102, v66, v57 dst_sel:DWORD dst_unused:UNUSED_PAD src0_sel:WORD_0 src1_sel:DWORD
	v_mul_u32_u24_sdwa v66, v66, v57 dst_sel:DWORD dst_unused:UNUSED_PAD src0_sel:WORD_1 src1_sel:DWORD
	s_waitcnt lgkmcnt(0)
	v_pk_fma_f16 v25, v70, v102, v25
	v_pk_fma_f16 v74, v70, v66, v74
	;; [unrolled: 1-line block ×5, first 2 shown]
	v_mul_u32_u24_sdwa v66, v67, v57 dst_sel:DWORD dst_unused:UNUSED_PAD src0_sel:WORD_0 src1_sel:DWORD
	v_pk_fma_f16 v78, v71, v102, v78
	v_pk_fma_f16 v79, v72, v102, v79
	;; [unrolled: 1-line block ×7, first 2 shown]
	v_mul_u32_u24_sdwa v66, v67, v57 dst_sel:DWORD dst_unused:UNUSED_PAD src0_sel:WORD_1 src1_sel:DWORD
	v_pk_fma_f16 v70, v70, v66, v98
	v_pk_fma_f16 v71, v71, v66, v99
	;; [unrolled: 1-line block ×4, first 2 shown]
	v_mul_u32_u24_sdwa v98, v68, v57 dst_sel:DWORD dst_unused:UNUSED_PAD src0_sel:WORD_0 src1_sel:DWORD
	v_mul_u32_u24_sdwa v99, v68, v57 dst_sel:DWORD dst_unused:UNUSED_PAD src0_sel:WORD_1 src1_sel:DWORD
	v_mul_u32_u24_sdwa v100, v69, v57 dst_sel:DWORD dst_unused:UNUSED_PAD src0_sel:WORD_0 src1_sel:DWORD
	v_mul_u32_u24_sdwa v101, v69, v57 dst_sel:DWORD dst_unused:UNUSED_PAD src0_sel:WORD_1 src1_sel:DWORD
	ds_read2_b64 v[66:69], v59 offset0:192 offset1:224
	s_waitcnt lgkmcnt(0)
	v_pk_fma_f16 v25, v66, v98, v25
	v_pk_fma_f16 v78, v67, v98, v78
	;; [unrolled: 1-line block ×16, first 2 shown]
	ds_read_b128 v[66:69], v50 offset:832
	ds_read2_b64 v[70:73], v60 offset1:32
	s_waitcnt lgkmcnt(1)
	v_mul_u32_u24_sdwa v102, v66, v57 dst_sel:DWORD dst_unused:UNUSED_PAD src0_sel:WORD_0 src1_sel:DWORD
	v_mul_u32_u24_sdwa v66, v66, v57 dst_sel:DWORD dst_unused:UNUSED_PAD src0_sel:WORD_1 src1_sel:DWORD
	s_waitcnt lgkmcnt(0)
	v_pk_fma_f16 v25, v70, v102, v25
	v_pk_fma_f16 v74, v70, v66, v74
	;; [unrolled: 1-line block ×5, first 2 shown]
	v_mul_u32_u24_sdwa v66, v67, v57 dst_sel:DWORD dst_unused:UNUSED_PAD src0_sel:WORD_0 src1_sel:DWORD
	v_pk_fma_f16 v78, v71, v102, v78
	v_pk_fma_f16 v79, v72, v102, v79
	;; [unrolled: 1-line block ×7, first 2 shown]
	v_mul_u32_u24_sdwa v66, v67, v57 dst_sel:DWORD dst_unused:UNUSED_PAD src0_sel:WORD_1 src1_sel:DWORD
	v_pk_fma_f16 v70, v70, v66, v98
	v_pk_fma_f16 v71, v71, v66, v99
	;; [unrolled: 1-line block ×4, first 2 shown]
	v_mul_u32_u24_sdwa v98, v68, v57 dst_sel:DWORD dst_unused:UNUSED_PAD src0_sel:WORD_0 src1_sel:DWORD
	v_mul_u32_u24_sdwa v99, v68, v57 dst_sel:DWORD dst_unused:UNUSED_PAD src0_sel:WORD_1 src1_sel:DWORD
	v_mul_u32_u24_sdwa v100, v69, v57 dst_sel:DWORD dst_unused:UNUSED_PAD src0_sel:WORD_0 src1_sel:DWORD
	v_mul_u32_u24_sdwa v101, v69, v57 dst_sel:DWORD dst_unused:UNUSED_PAD src0_sel:WORD_1 src1_sel:DWORD
	ds_read2_b64 v[66:69], v60 offset0:64 offset1:96
	s_waitcnt lgkmcnt(0)
	v_pk_fma_f16 v25, v66, v98, v25
	v_pk_fma_f16 v78, v67, v98, v78
	;; [unrolled: 1-line block ×16, first 2 shown]
	ds_read_b128 v[66:69], v50 offset:848
	ds_read2_b64 v[70:73], v60 offset0:128 offset1:160
	s_waitcnt lgkmcnt(1)
	v_mul_u32_u24_sdwa v102, v66, v57 dst_sel:DWORD dst_unused:UNUSED_PAD src0_sel:WORD_0 src1_sel:DWORD
	v_mul_u32_u24_sdwa v66, v66, v57 dst_sel:DWORD dst_unused:UNUSED_PAD src0_sel:WORD_1 src1_sel:DWORD
	s_waitcnt lgkmcnt(0)
	v_pk_fma_f16 v25, v70, v102, v25
	v_pk_fma_f16 v74, v70, v66, v74
	;; [unrolled: 1-line block ×5, first 2 shown]
	v_mul_u32_u24_sdwa v66, v67, v57 dst_sel:DWORD dst_unused:UNUSED_PAD src0_sel:WORD_0 src1_sel:DWORD
	v_pk_fma_f16 v78, v71, v102, v78
	v_pk_fma_f16 v79, v72, v102, v79
	;; [unrolled: 1-line block ×7, first 2 shown]
	v_mul_u32_u24_sdwa v66, v67, v57 dst_sel:DWORD dst_unused:UNUSED_PAD src0_sel:WORD_1 src1_sel:DWORD
	v_pk_fma_f16 v70, v70, v66, v98
	v_pk_fma_f16 v71, v71, v66, v99
	;; [unrolled: 1-line block ×4, first 2 shown]
	v_mul_u32_u24_sdwa v98, v68, v57 dst_sel:DWORD dst_unused:UNUSED_PAD src0_sel:WORD_0 src1_sel:DWORD
	v_mul_u32_u24_sdwa v99, v68, v57 dst_sel:DWORD dst_unused:UNUSED_PAD src0_sel:WORD_1 src1_sel:DWORD
	v_mul_u32_u24_sdwa v100, v69, v57 dst_sel:DWORD dst_unused:UNUSED_PAD src0_sel:WORD_0 src1_sel:DWORD
	v_mul_u32_u24_sdwa v101, v69, v57 dst_sel:DWORD dst_unused:UNUSED_PAD src0_sel:WORD_1 src1_sel:DWORD
	ds_read2_b64 v[66:69], v60 offset0:192 offset1:224
	s_waitcnt lgkmcnt(0)
	v_pk_fma_f16 v25, v66, v98, v25
	v_pk_fma_f16 v78, v67, v98, v78
	;; [unrolled: 1-line block ×16, first 2 shown]
	ds_read_b128 v[66:69], v50 offset:864
	ds_read2_b64 v[70:73], v61 offset1:32
	s_waitcnt lgkmcnt(1)
	v_mul_u32_u24_sdwa v102, v66, v57 dst_sel:DWORD dst_unused:UNUSED_PAD src0_sel:WORD_0 src1_sel:DWORD
	v_mul_u32_u24_sdwa v66, v66, v57 dst_sel:DWORD dst_unused:UNUSED_PAD src0_sel:WORD_1 src1_sel:DWORD
	s_waitcnt lgkmcnt(0)
	v_pk_fma_f16 v25, v70, v102, v25
	v_pk_fma_f16 v74, v70, v66, v74
	;; [unrolled: 1-line block ×5, first 2 shown]
	v_mul_u32_u24_sdwa v66, v67, v57 dst_sel:DWORD dst_unused:UNUSED_PAD src0_sel:WORD_0 src1_sel:DWORD
	v_pk_fma_f16 v78, v71, v102, v78
	v_pk_fma_f16 v79, v72, v102, v79
	;; [unrolled: 1-line block ×7, first 2 shown]
	v_mul_u32_u24_sdwa v66, v67, v57 dst_sel:DWORD dst_unused:UNUSED_PAD src0_sel:WORD_1 src1_sel:DWORD
	v_pk_fma_f16 v70, v70, v66, v98
	v_pk_fma_f16 v71, v71, v66, v99
	;; [unrolled: 1-line block ×4, first 2 shown]
	v_mul_u32_u24_sdwa v98, v68, v57 dst_sel:DWORD dst_unused:UNUSED_PAD src0_sel:WORD_0 src1_sel:DWORD
	v_mul_u32_u24_sdwa v99, v68, v57 dst_sel:DWORD dst_unused:UNUSED_PAD src0_sel:WORD_1 src1_sel:DWORD
	v_mul_u32_u24_sdwa v100, v69, v57 dst_sel:DWORD dst_unused:UNUSED_PAD src0_sel:WORD_0 src1_sel:DWORD
	v_mul_u32_u24_sdwa v101, v69, v57 dst_sel:DWORD dst_unused:UNUSED_PAD src0_sel:WORD_1 src1_sel:DWORD
	ds_read2_b64 v[66:69], v61 offset0:64 offset1:96
	s_waitcnt lgkmcnt(0)
	v_pk_fma_f16 v25, v66, v98, v25
	v_pk_fma_f16 v78, v67, v98, v78
	;; [unrolled: 1-line block ×16, first 2 shown]
	ds_read_b128 v[66:69], v50 offset:880
	ds_read2_b64 v[70:73], v61 offset0:128 offset1:160
	s_waitcnt lgkmcnt(1)
	v_mul_u32_u24_sdwa v102, v66, v57 dst_sel:DWORD dst_unused:UNUSED_PAD src0_sel:WORD_0 src1_sel:DWORD
	v_mul_u32_u24_sdwa v66, v66, v57 dst_sel:DWORD dst_unused:UNUSED_PAD src0_sel:WORD_1 src1_sel:DWORD
	s_waitcnt lgkmcnt(0)
	v_pk_fma_f16 v25, v70, v102, v25
	v_pk_fma_f16 v74, v70, v66, v74
	;; [unrolled: 1-line block ×5, first 2 shown]
	v_mul_u32_u24_sdwa v66, v67, v57 dst_sel:DWORD dst_unused:UNUSED_PAD src0_sel:WORD_0 src1_sel:DWORD
	v_pk_fma_f16 v78, v71, v102, v78
	v_pk_fma_f16 v79, v72, v102, v79
	;; [unrolled: 1-line block ×7, first 2 shown]
	v_mul_u32_u24_sdwa v66, v67, v57 dst_sel:DWORD dst_unused:UNUSED_PAD src0_sel:WORD_1 src1_sel:DWORD
	v_pk_fma_f16 v70, v70, v66, v98
	v_pk_fma_f16 v71, v71, v66, v99
	;; [unrolled: 1-line block ×4, first 2 shown]
	v_mul_u32_u24_sdwa v98, v68, v57 dst_sel:DWORD dst_unused:UNUSED_PAD src0_sel:WORD_0 src1_sel:DWORD
	v_mul_u32_u24_sdwa v99, v68, v57 dst_sel:DWORD dst_unused:UNUSED_PAD src0_sel:WORD_1 src1_sel:DWORD
	v_mul_u32_u24_sdwa v100, v69, v57 dst_sel:DWORD dst_unused:UNUSED_PAD src0_sel:WORD_0 src1_sel:DWORD
	v_mul_u32_u24_sdwa v101, v69, v57 dst_sel:DWORD dst_unused:UNUSED_PAD src0_sel:WORD_1 src1_sel:DWORD
	ds_read2_b64 v[66:69], v61 offset0:192 offset1:224
	s_waitcnt lgkmcnt(0)
	v_pk_fma_f16 v25, v66, v98, v25
	v_pk_fma_f16 v78, v67, v98, v78
	;; [unrolled: 1-line block ×16, first 2 shown]
	ds_read_b128 v[66:69], v50 offset:896
	ds_read2_b64 v[70:73], v62 offset1:32
	s_waitcnt lgkmcnt(1)
	v_mul_u32_u24_sdwa v102, v66, v57 dst_sel:DWORD dst_unused:UNUSED_PAD src0_sel:WORD_0 src1_sel:DWORD
	v_mul_u32_u24_sdwa v66, v66, v57 dst_sel:DWORD dst_unused:UNUSED_PAD src0_sel:WORD_1 src1_sel:DWORD
	s_waitcnt lgkmcnt(0)
	v_pk_fma_f16 v25, v70, v102, v25
	v_pk_fma_f16 v74, v70, v66, v74
	;; [unrolled: 1-line block ×5, first 2 shown]
	v_mul_u32_u24_sdwa v66, v67, v57 dst_sel:DWORD dst_unused:UNUSED_PAD src0_sel:WORD_0 src1_sel:DWORD
	v_pk_fma_f16 v78, v71, v102, v78
	v_pk_fma_f16 v79, v72, v102, v79
	;; [unrolled: 1-line block ×7, first 2 shown]
	v_mul_u32_u24_sdwa v66, v67, v57 dst_sel:DWORD dst_unused:UNUSED_PAD src0_sel:WORD_1 src1_sel:DWORD
	v_pk_fma_f16 v70, v70, v66, v98
	v_pk_fma_f16 v71, v71, v66, v99
	;; [unrolled: 1-line block ×4, first 2 shown]
	v_mul_u32_u24_sdwa v98, v68, v57 dst_sel:DWORD dst_unused:UNUSED_PAD src0_sel:WORD_0 src1_sel:DWORD
	v_mul_u32_u24_sdwa v99, v68, v57 dst_sel:DWORD dst_unused:UNUSED_PAD src0_sel:WORD_1 src1_sel:DWORD
	v_mul_u32_u24_sdwa v100, v69, v57 dst_sel:DWORD dst_unused:UNUSED_PAD src0_sel:WORD_0 src1_sel:DWORD
	v_mul_u32_u24_sdwa v101, v69, v57 dst_sel:DWORD dst_unused:UNUSED_PAD src0_sel:WORD_1 src1_sel:DWORD
	ds_read2_b64 v[66:69], v62 offset0:64 offset1:96
	s_waitcnt lgkmcnt(0)
	v_pk_fma_f16 v25, v66, v98, v25
	v_pk_fma_f16 v78, v67, v98, v78
	;; [unrolled: 1-line block ×16, first 2 shown]
	ds_read_b128 v[66:69], v50 offset:912
	ds_read2_b64 v[70:73], v62 offset0:128 offset1:160
	s_waitcnt lgkmcnt(1)
	v_mul_u32_u24_sdwa v102, v66, v57 dst_sel:DWORD dst_unused:UNUSED_PAD src0_sel:WORD_0 src1_sel:DWORD
	v_mul_u32_u24_sdwa v66, v66, v57 dst_sel:DWORD dst_unused:UNUSED_PAD src0_sel:WORD_1 src1_sel:DWORD
	s_waitcnt lgkmcnt(0)
	v_pk_fma_f16 v25, v70, v102, v25
	v_pk_fma_f16 v74, v70, v66, v74
	;; [unrolled: 1-line block ×5, first 2 shown]
	v_mul_u32_u24_sdwa v66, v67, v57 dst_sel:DWORD dst_unused:UNUSED_PAD src0_sel:WORD_0 src1_sel:DWORD
	v_pk_fma_f16 v78, v71, v102, v78
	v_pk_fma_f16 v79, v72, v102, v79
	;; [unrolled: 1-line block ×7, first 2 shown]
	v_mul_u32_u24_sdwa v66, v67, v57 dst_sel:DWORD dst_unused:UNUSED_PAD src0_sel:WORD_1 src1_sel:DWORD
	v_pk_fma_f16 v70, v70, v66, v98
	v_pk_fma_f16 v71, v71, v66, v99
	;; [unrolled: 1-line block ×4, first 2 shown]
	v_mul_u32_u24_sdwa v98, v68, v57 dst_sel:DWORD dst_unused:UNUSED_PAD src0_sel:WORD_0 src1_sel:DWORD
	v_mul_u32_u24_sdwa v99, v68, v57 dst_sel:DWORD dst_unused:UNUSED_PAD src0_sel:WORD_1 src1_sel:DWORD
	v_mul_u32_u24_sdwa v100, v69, v57 dst_sel:DWORD dst_unused:UNUSED_PAD src0_sel:WORD_0 src1_sel:DWORD
	v_mul_u32_u24_sdwa v101, v69, v57 dst_sel:DWORD dst_unused:UNUSED_PAD src0_sel:WORD_1 src1_sel:DWORD
	ds_read2_b64 v[66:69], v62 offset0:192 offset1:224
	s_waitcnt lgkmcnt(0)
	v_pk_fma_f16 v25, v66, v98, v25
	v_pk_fma_f16 v78, v67, v98, v78
	;; [unrolled: 1-line block ×16, first 2 shown]
	ds_read_b128 v[66:69], v50 offset:928
	ds_read2_b64 v[70:73], v63 offset1:32
	s_waitcnt lgkmcnt(1)
	v_mul_u32_u24_sdwa v102, v66, v57 dst_sel:DWORD dst_unused:UNUSED_PAD src0_sel:WORD_0 src1_sel:DWORD
	v_mul_u32_u24_sdwa v66, v66, v57 dst_sel:DWORD dst_unused:UNUSED_PAD src0_sel:WORD_1 src1_sel:DWORD
	s_waitcnt lgkmcnt(0)
	v_pk_fma_f16 v25, v70, v102, v25
	v_pk_fma_f16 v74, v70, v66, v74
	;; [unrolled: 1-line block ×5, first 2 shown]
	v_mul_u32_u24_sdwa v66, v67, v57 dst_sel:DWORD dst_unused:UNUSED_PAD src0_sel:WORD_0 src1_sel:DWORD
	v_pk_fma_f16 v78, v71, v102, v78
	v_pk_fma_f16 v79, v72, v102, v79
	;; [unrolled: 1-line block ×7, first 2 shown]
	v_mul_u32_u24_sdwa v66, v67, v57 dst_sel:DWORD dst_unused:UNUSED_PAD src0_sel:WORD_1 src1_sel:DWORD
	v_pk_fma_f16 v70, v70, v66, v98
	v_pk_fma_f16 v71, v71, v66, v99
	;; [unrolled: 1-line block ×4, first 2 shown]
	v_mul_u32_u24_sdwa v98, v68, v57 dst_sel:DWORD dst_unused:UNUSED_PAD src0_sel:WORD_0 src1_sel:DWORD
	v_mul_u32_u24_sdwa v99, v68, v57 dst_sel:DWORD dst_unused:UNUSED_PAD src0_sel:WORD_1 src1_sel:DWORD
	v_mul_u32_u24_sdwa v100, v69, v57 dst_sel:DWORD dst_unused:UNUSED_PAD src0_sel:WORD_0 src1_sel:DWORD
	v_mul_u32_u24_sdwa v101, v69, v57 dst_sel:DWORD dst_unused:UNUSED_PAD src0_sel:WORD_1 src1_sel:DWORD
	ds_read2_b64 v[66:69], v63 offset0:64 offset1:96
	s_waitcnt lgkmcnt(0)
	v_pk_fma_f16 v25, v66, v98, v25
	v_pk_fma_f16 v78, v67, v98, v78
	;; [unrolled: 1-line block ×16, first 2 shown]
	ds_read_b128 v[66:69], v50 offset:944
	ds_read2_b64 v[70:73], v63 offset0:128 offset1:160
	s_waitcnt lgkmcnt(1)
	v_mul_u32_u24_sdwa v102, v66, v57 dst_sel:DWORD dst_unused:UNUSED_PAD src0_sel:WORD_0 src1_sel:DWORD
	v_mul_u32_u24_sdwa v66, v66, v57 dst_sel:DWORD dst_unused:UNUSED_PAD src0_sel:WORD_1 src1_sel:DWORD
	s_waitcnt lgkmcnt(0)
	v_pk_fma_f16 v25, v70, v102, v25
	v_pk_fma_f16 v74, v70, v66, v74
	;; [unrolled: 1-line block ×5, first 2 shown]
	v_mul_u32_u24_sdwa v66, v67, v57 dst_sel:DWORD dst_unused:UNUSED_PAD src0_sel:WORD_0 src1_sel:DWORD
	v_pk_fma_f16 v78, v71, v102, v78
	v_pk_fma_f16 v79, v72, v102, v79
	;; [unrolled: 1-line block ×7, first 2 shown]
	v_mul_u32_u24_sdwa v66, v67, v57 dst_sel:DWORD dst_unused:UNUSED_PAD src0_sel:WORD_1 src1_sel:DWORD
	v_pk_fma_f16 v70, v70, v66, v98
	v_pk_fma_f16 v71, v71, v66, v99
	;; [unrolled: 1-line block ×4, first 2 shown]
	v_mul_u32_u24_sdwa v98, v68, v57 dst_sel:DWORD dst_unused:UNUSED_PAD src0_sel:WORD_0 src1_sel:DWORD
	v_mul_u32_u24_sdwa v99, v68, v57 dst_sel:DWORD dst_unused:UNUSED_PAD src0_sel:WORD_1 src1_sel:DWORD
	v_mul_u32_u24_sdwa v100, v69, v57 dst_sel:DWORD dst_unused:UNUSED_PAD src0_sel:WORD_0 src1_sel:DWORD
	v_mul_u32_u24_sdwa v101, v69, v57 dst_sel:DWORD dst_unused:UNUSED_PAD src0_sel:WORD_1 src1_sel:DWORD
	ds_read2_b64 v[66:69], v63 offset0:192 offset1:224
	s_waitcnt lgkmcnt(0)
	v_pk_fma_f16 v25, v66, v98, v25
	v_pk_fma_f16 v78, v67, v98, v78
	;; [unrolled: 1-line block ×16, first 2 shown]
	ds_read_b128 v[66:69], v50 offset:960
	ds_read2_b64 v[70:73], v64 offset1:32
	s_waitcnt lgkmcnt(1)
	v_mul_u32_u24_sdwa v102, v66, v57 dst_sel:DWORD dst_unused:UNUSED_PAD src0_sel:WORD_0 src1_sel:DWORD
	v_mul_u32_u24_sdwa v66, v66, v57 dst_sel:DWORD dst_unused:UNUSED_PAD src0_sel:WORD_1 src1_sel:DWORD
	s_waitcnt lgkmcnt(0)
	v_pk_fma_f16 v25, v70, v102, v25
	v_pk_fma_f16 v74, v70, v66, v74
	;; [unrolled: 1-line block ×5, first 2 shown]
	v_mul_u32_u24_sdwa v66, v67, v57 dst_sel:DWORD dst_unused:UNUSED_PAD src0_sel:WORD_0 src1_sel:DWORD
	v_pk_fma_f16 v78, v71, v102, v78
	v_pk_fma_f16 v79, v72, v102, v79
	;; [unrolled: 1-line block ×7, first 2 shown]
	v_mul_u32_u24_sdwa v66, v67, v57 dst_sel:DWORD dst_unused:UNUSED_PAD src0_sel:WORD_1 src1_sel:DWORD
	v_pk_fma_f16 v70, v70, v66, v98
	v_pk_fma_f16 v71, v71, v66, v99
	v_pk_fma_f16 v72, v72, v66, v100
	v_pk_fma_f16 v73, v73, v66, v101
	v_mul_u32_u24_sdwa v98, v68, v57 dst_sel:DWORD dst_unused:UNUSED_PAD src0_sel:WORD_0 src1_sel:DWORD
	v_mul_u32_u24_sdwa v99, v68, v57 dst_sel:DWORD dst_unused:UNUSED_PAD src0_sel:WORD_1 src1_sel:DWORD
	v_mul_u32_u24_sdwa v100, v69, v57 dst_sel:DWORD dst_unused:UNUSED_PAD src0_sel:WORD_0 src1_sel:DWORD
	v_mul_u32_u24_sdwa v101, v69, v57 dst_sel:DWORD dst_unused:UNUSED_PAD src0_sel:WORD_1 src1_sel:DWORD
	ds_read2_b64 v[66:69], v64 offset0:64 offset1:96
	s_waitcnt lgkmcnt(0)
	v_pk_fma_f16 v25, v66, v98, v25
	v_pk_fma_f16 v78, v67, v98, v78
	;; [unrolled: 1-line block ×16, first 2 shown]
	ds_read_b128 v[66:69], v50 offset:976
	ds_read2_b64 v[70:73], v64 offset0:128 offset1:160
	s_waitcnt lgkmcnt(1)
	v_mul_u32_u24_sdwa v102, v66, v57 dst_sel:DWORD dst_unused:UNUSED_PAD src0_sel:WORD_0 src1_sel:DWORD
	v_mul_u32_u24_sdwa v66, v66, v57 dst_sel:DWORD dst_unused:UNUSED_PAD src0_sel:WORD_1 src1_sel:DWORD
	s_waitcnt lgkmcnt(0)
	v_pk_fma_f16 v25, v70, v102, v25
	v_pk_fma_f16 v74, v70, v66, v74
	;; [unrolled: 1-line block ×5, first 2 shown]
	v_mul_u32_u24_sdwa v66, v67, v57 dst_sel:DWORD dst_unused:UNUSED_PAD src0_sel:WORD_0 src1_sel:DWORD
	v_pk_fma_f16 v78, v71, v102, v78
	v_pk_fma_f16 v79, v72, v102, v79
	;; [unrolled: 1-line block ×7, first 2 shown]
	v_mul_u32_u24_sdwa v66, v67, v57 dst_sel:DWORD dst_unused:UNUSED_PAD src0_sel:WORD_1 src1_sel:DWORD
	v_pk_fma_f16 v70, v70, v66, v98
	v_pk_fma_f16 v71, v71, v66, v99
	;; [unrolled: 1-line block ×4, first 2 shown]
	v_mul_u32_u24_sdwa v98, v68, v57 dst_sel:DWORD dst_unused:UNUSED_PAD src0_sel:WORD_0 src1_sel:DWORD
	v_mul_u32_u24_sdwa v99, v68, v57 dst_sel:DWORD dst_unused:UNUSED_PAD src0_sel:WORD_1 src1_sel:DWORD
	v_mul_u32_u24_sdwa v100, v69, v57 dst_sel:DWORD dst_unused:UNUSED_PAD src0_sel:WORD_0 src1_sel:DWORD
	v_mul_u32_u24_sdwa v101, v69, v57 dst_sel:DWORD dst_unused:UNUSED_PAD src0_sel:WORD_1 src1_sel:DWORD
	ds_read2_b64 v[66:69], v64 offset0:192 offset1:224
	s_waitcnt lgkmcnt(0)
	v_pk_fma_f16 v25, v66, v98, v25
	v_pk_fma_f16 v78, v67, v98, v78
	;; [unrolled: 1-line block ×16, first 2 shown]
	ds_read_b128 v[66:69], v50 offset:992
	ds_read2_b64 v[70:73], v65 offset1:32
	s_waitcnt lgkmcnt(1)
	v_mul_u32_u24_sdwa v102, v66, v57 dst_sel:DWORD dst_unused:UNUSED_PAD src0_sel:WORD_0 src1_sel:DWORD
	v_mul_u32_u24_sdwa v66, v66, v57 dst_sel:DWORD dst_unused:UNUSED_PAD src0_sel:WORD_1 src1_sel:DWORD
	s_waitcnt lgkmcnt(0)
	v_pk_fma_f16 v25, v70, v102, v25
	v_pk_fma_f16 v74, v70, v66, v74
	;; [unrolled: 1-line block ×5, first 2 shown]
	v_mul_u32_u24_sdwa v66, v67, v57 dst_sel:DWORD dst_unused:UNUSED_PAD src0_sel:WORD_0 src1_sel:DWORD
	v_pk_fma_f16 v78, v71, v102, v78
	v_pk_fma_f16 v79, v72, v102, v79
	;; [unrolled: 1-line block ×7, first 2 shown]
	v_mul_u32_u24_sdwa v66, v67, v57 dst_sel:DWORD dst_unused:UNUSED_PAD src0_sel:WORD_1 src1_sel:DWORD
	v_pk_fma_f16 v70, v70, v66, v98
	v_pk_fma_f16 v71, v71, v66, v99
	v_pk_fma_f16 v72, v72, v66, v100
	v_pk_fma_f16 v73, v73, v66, v101
	v_mul_u32_u24_sdwa v98, v68, v57 dst_sel:DWORD dst_unused:UNUSED_PAD src0_sel:WORD_0 src1_sel:DWORD
	v_mul_u32_u24_sdwa v99, v68, v57 dst_sel:DWORD dst_unused:UNUSED_PAD src0_sel:WORD_1 src1_sel:DWORD
	v_mul_u32_u24_sdwa v100, v69, v57 dst_sel:DWORD dst_unused:UNUSED_PAD src0_sel:WORD_0 src1_sel:DWORD
	v_mul_u32_u24_sdwa v101, v69, v57 dst_sel:DWORD dst_unused:UNUSED_PAD src0_sel:WORD_1 src1_sel:DWORD
	ds_read2_b64 v[66:69], v65 offset0:64 offset1:96
	s_waitcnt lgkmcnt(0)
	v_pk_fma_f16 v25, v66, v98, v25
	v_pk_fma_f16 v78, v67, v98, v78
	;; [unrolled: 1-line block ×16, first 2 shown]
	ds_read_b128 v[66:69], v50 offset:1008
	ds_read2_b64 v[70:73], v65 offset0:128 offset1:160
	s_waitcnt lgkmcnt(1)
	v_mul_u32_u24_sdwa v102, v66, v57 dst_sel:DWORD dst_unused:UNUSED_PAD src0_sel:WORD_0 src1_sel:DWORD
	v_mul_u32_u24_sdwa v66, v66, v57 dst_sel:DWORD dst_unused:UNUSED_PAD src0_sel:WORD_1 src1_sel:DWORD
	v_mul_u32_u24_sdwa v110, v69, v57 dst_sel:DWORD dst_unused:UNUSED_PAD src0_sel:WORD_1 src1_sel:DWORD
	s_waitcnt lgkmcnt(0)
	v_pk_fma_f16 v25, v70, v102, v25
	v_pk_fma_f16 v103, v71, v102, v78
	v_pk_fma_f16 v79, v72, v102, v79
	v_pk_fma_f16 v24, v73, v102, v24
	v_pk_fma_f16 v102, v72, v66, v76
	v_mul_u32_u24_sdwa v76, v67, v57 dst_sel:DWORD dst_unused:UNUSED_PAD src0_sel:WORD_0 src1_sel:DWORD
	v_mul_u32_u24_sdwa v67, v67, v57 dst_sel:DWORD dst_unused:UNUSED_PAD src0_sel:WORD_1 src1_sel:DWORD
	v_pk_fma_f16 v74, v70, v66, v74
	v_pk_fma_f16 v75, v71, v66, v75
	;; [unrolled: 1-line block ×7, first 2 shown]
	ds_read2_b64 v[96:99], v65 offset0:192 offset1:224
	v_pk_fma_f16 v100, v72, v67, v100
	v_pk_fma_f16 v101, v73, v67, v101
	v_mul_u32_u24_sdwa v67, v68, v57 dst_sel:DWORD dst_unused:UNUSED_PAD src0_sel:WORD_0 src1_sel:DWORD
	v_pk_fma_f16 v104, v70, v76, v80
	s_waitcnt lgkmcnt(0)
	s_barrier
	buffer_gl0_inv
	s_load_dword s0, s[10:11], 0x4
	v_pk_fma_f16 v105, v71, v76, v81
	v_mul_u32_u24_sdwa v68, v68, v57 dst_sel:DWORD dst_unused:UNUSED_PAD src0_sel:WORD_1 src1_sel:DWORD
	v_mul_u32_u24_sdwa v71, v69, v57 dst_sel:DWORD dst_unused:UNUSED_PAD src0_sel:WORD_0 src1_sel:DWORD
	v_pk_fma_f16 v80, v99, v67, v24
	v_add_f32_e32 v24, v29, v83
	v_pk_fma_f16 v78, v96, v67, v25
	v_mov_b32_e32 v25, v43
	v_pk_fma_f16 v81, v97, v67, v103
	v_pk_fma_f16 v79, v98, v67, v79
	v_add_f32_e32 v24, v87, v24
	v_pk_fma_f16 v76, v96, v68, v74
	s_waitcnt lgkmcnt(0)
	s_lshl_b32 s0, s0, 7
	v_pk_fma_f16 v77, v97, v68, v75
	v_pk_fma_f16 v74, v98, v68, v102
	v_add_f32_e32 v43, v91, v24
	v_add_f32_e32 v24, v28, v82
	v_pk_fma_f16 v75, v99, v68, v66
	v_pk_fma_f16 v72, v96, v71, v104
	;; [unrolled: 1-line block ×3, first 2 shown]
	v_fmac_f32_e32 v43, v25, v95
	v_add_f32_e32 v24, v86, v24
	v_mov_b32_e32 v25, v42
	v_pk_fma_f16 v70, v98, v71, v106
	v_pk_fma_f16 v71, v99, v71, v107
	;; [unrolled: 1-line block ×3, first 2 shown]
	v_add_f32_e32 v42, v90, v24
	v_add_f32_e32 v24, v27, v31
	v_pk_fma_f16 v69, v97, v110, v109
	v_pk_fma_f16 v67, v98, v110, v100
	;; [unrolled: 1-line block ×3, first 2 shown]
	v_fmac_f32_e32 v42, v25, v94
	v_add_f32_e32 v24, v85, v24
	v_mov_b32_e32 v25, v41
	s_add_i32 s9, s0, s9
	s_cmp_ge_i32 s9, s30
	v_add_f32_e32 v41, v89, v24
	v_add_f32_e32 v24, v26, v30
	v_fmac_f32_e32 v41, v25, v93
	v_add_f32_e32 v24, v84, v24
	v_mov_b32_e32 v25, v40
	v_add_f32_e32 v24, v88, v24
	v_mov_b32_e32 v40, v24
	v_fmac_f32_e32 v40, v25, v92
	s_cbranch_scc0 .LBB0_17
; %bb.18:
	v_mov_b32_e32 v6, 32
	v_mov_b32_e32 v7, v34
.LBB0_19:
	v_cmp_lt_i32_e32 vcc_lo, v39, v6
	s_cmp_lg_u64 s[16:17], 0
	s_cselect_b32 s0, -1, 0
	s_cmp_eq_u32 s28, 0
	v_cndmask_b32_e32 v5, v7, v39, vcc_lo
	v_cmp_lt_i32_e32 vcc_lo, v38, v6
	s_cselect_b32 s1, -1, 0
	s_and_b32 s0, s1, s0
	v_lshlrev_b32_e32 v5, 2, v5
	v_cndmask_b32_e32 v11, v7, v38, vcc_lo
	v_cmp_lt_i32_e32 vcc_lo, v37, v6
	ds_bpermute_b32 v8, v5, v43
	ds_bpermute_b32 v9, v5, v42
	;; [unrolled: 1-line block ×4, first 2 shown]
	v_lshlrev_b32_e32 v11, 2, v11
	v_cndmask_b32_e32 v17, v7, v37, vcc_lo
	v_cmp_lt_i32_e32 vcc_lo, v36, v6
	v_lshlrev_b32_e32 v17, 2, v17
	s_waitcnt lgkmcnt(3)
	v_add_f32_e32 v8, v43, v8
	s_waitcnt lgkmcnt(2)
	v_add_f32_e32 v9, v42, v9
	;; [unrolled: 2-line block ×4, first 2 shown]
	ds_bpermute_b32 v14, v11, v8
	ds_bpermute_b32 v15, v11, v9
	;; [unrolled: 1-line block ×4, first 2 shown]
	s_waitcnt lgkmcnt(3)
	v_add_f32_e32 v8, v8, v14
	s_waitcnt lgkmcnt(2)
	v_add_f32_e32 v9, v9, v15
	;; [unrolled: 2-line block ×4, first 2 shown]
	ds_bpermute_b32 v11, v17, v8
	ds_bpermute_b32 v14, v17, v9
	;; [unrolled: 1-line block ×4, first 2 shown]
	v_cndmask_b32_e32 v17, v7, v36, vcc_lo
	v_cmp_lt_i32_e32 vcc_lo, v35, v6
	v_lshlrev_b32_e32 v17, 2, v17
	v_cndmask_b32_e32 v6, v7, v35, vcc_lo
	s_and_b32 vcc_lo, exec_lo, s0
	s_mov_b32 s0, 0
	v_lshlrev_b32_e32 v6, 2, v6
	s_waitcnt lgkmcnt(3)
	v_add_f32_e32 v8, v8, v11
	s_waitcnt lgkmcnt(2)
	v_add_f32_e32 v9, v9, v14
	;; [unrolled: 2-line block ×4, first 2 shown]
	ds_bpermute_b32 v11, v17, v8
	ds_bpermute_b32 v14, v17, v9
	;; [unrolled: 1-line block ×4, first 2 shown]
	s_waitcnt lgkmcnt(3)
	v_add_f32_e32 v7, v8, v11
	s_waitcnt lgkmcnt(2)
	v_add_f32_e32 v8, v9, v14
	s_waitcnt lgkmcnt(1)
	v_add_f32_e32 v9, v10, v15
	s_waitcnt lgkmcnt(0)
	v_add_f32_e32 v10, v5, v16
	ds_bpermute_b32 v5, v6, v7
	ds_bpermute_b32 v11, v6, v8
	;; [unrolled: 1-line block ×4, first 2 shown]
	s_waitcnt lgkmcnt(3)
	v_add_f32_e32 v5, v7, v5
	s_waitcnt lgkmcnt(2)
	v_add_f32_e32 v6, v8, v11
	;; [unrolled: 2-line block ×4, first 2 shown]
	v_add_nc_u32_e32 v14, s33, v12
	s_cbranch_vccnz .LBB0_22
; %bb.20:
	v_add_nc_u32_e32 v15, s33, v12
	v_mov_b32_e32 v12, v8
	v_mov_b32_e32 v11, v7
	;; [unrolled: 1-line block ×4, first 2 shown]
	s_andn2_b32 vcc_lo, exec_lo, s0
	s_cbranch_vccz .LBB0_23
; %bb.21:
	v_mov_b32_e32 v14, v15
	s_branch .LBB0_24
.LBB0_22:
                                        ; implicit-def: $vgpr15
                                        ; implicit-def: $vgpr9_vgpr10_vgpr11_vgpr12
.LBB0_23:
	v_ashrrev_i32_e32 v15, 31, v14
	v_max_f32_e32 v16, v2, v2
	v_max_f32_e32 v17, v3, v3
	;; [unrolled: 1-line block ×3, first 2 shown]
	v_mov_b32_e32 v23, 0x10001
	v_lshlrev_b64 v[9:10], 2, v[14:15]
	v_max_f32_e32 v15, v1, v1
	v_add_co_u32 v9, vcc_lo, s16, v9
	v_add_co_ci_u32_e64 v10, null, s17, v10, vcc_lo
	global_load_dwordx4 v[9:12], v[9:10], off
	s_waitcnt vmcnt(0)
	v_max_f32_e32 v18, v9, v9
	v_max_f32_e32 v20, v10, v10
	;; [unrolled: 1-line block ×8, first 2 shown]
	v_sub_f32_e32 v19, v1, v15
	v_sub_f32_e32 v20, v2, v16
	;; [unrolled: 1-line block ×4, first 2 shown]
	v_mov_b32_e32 v1, v15
	v_sub_f32_e32 v9, v9, v15
	v_mov_b32_e32 v2, v16
	v_mov_b32_e32 v3, v17
	;; [unrolled: 1-line block ×3, first 2 shown]
	v_mul_f32_e32 v15, 0x3fb8aa3b, v19
	v_sub_f32_e32 v10, v10, v16
	v_mul_f32_e32 v16, 0x3fb8aa3b, v9
	v_sub_f32_e32 v11, v11, v17
	v_mul_f32_e32 v17, 0x3fb8aa3b, v20
	v_fma_f32 v28, 0x3fb8aa3b, v19, -v15
	v_rndne_f32_e32 v29, v15
	v_fma_f32 v30, 0x3fb8aa3b, v9, -v16
	v_rndne_f32_e32 v31, v16
	v_sub_f32_e32 v12, v12, v18
	v_fmac_f32_e32 v28, 0x32a5705f, v19
	v_sub_f32_e32 v15, v15, v29
	v_mul_f32_e32 v18, 0x3fb8aa3b, v10
	v_fma_f32 v33, 0x3fb8aa3b, v20, -v17
	v_rndne_f32_e32 v34, v17
	v_fmac_f32_e32 v30, 0x32a5705f, v9
	v_sub_f32_e32 v16, v16, v31
	v_add_f32_e32 v15, v15, v28
	v_mul_f32_e32 v24, 0x3fb8aa3b, v21
	v_fma_f32 v35, 0x3fb8aa3b, v10, -v18
	v_rndne_f32_e32 v36, v18
	v_fmac_f32_e32 v33, 0x32a5705f, v20
	v_sub_f32_e32 v17, v17, v34
	v_add_f32_e32 v16, v16, v30
	v_exp_f32_e32 v15, v15
	v_mul_f32_e32 v25, 0x3fb8aa3b, v11
	v_fma_f32 v37, 0x3fb8aa3b, v21, -v24
	v_rndne_f32_e32 v38, v24
	v_cvt_i32_f32_e32 v29, v29
	v_fmac_f32_e32 v35, 0x32a5705f, v10
	v_sub_f32_e32 v18, v18, v36
	v_add_f32_e32 v17, v17, v33
	v_exp_f32_e32 v16, v16
	v_mul_f32_e32 v26, 0x3fb8aa3b, v22
	v_fma_f32 v39, 0x3fb8aa3b, v11, -v25
	v_rndne_f32_e32 v40, v25
	v_cvt_i32_f32_e32 v31, v31
	v_fmac_f32_e32 v37, 0x32a5705f, v21
	v_sub_f32_e32 v24, v24, v38
	v_add_f32_e32 v18, v18, v35
	v_exp_f32_e32 v17, v17
	v_ldexp_f32 v15, v15, v29
	v_cmp_ngt_f32_e32 vcc_lo, 0xc2ce8ed0, v19
	v_mul_f32_e32 v27, 0x3fb8aa3b, v12
	v_fma_f32 v41, 0x3fb8aa3b, v22, -v26
	v_rndne_f32_e32 v42, v26
	v_cvt_i32_f32_e32 v34, v34
	v_fmac_f32_e32 v39, 0x32a5705f, v11
	v_sub_f32_e32 v25, v25, v40
	v_add_f32_e32 v24, v24, v37
	v_exp_f32_e32 v18, v18
	v_ldexp_f32 v16, v16, v31
	v_cndmask_b32_e32 v15, 0, v15, vcc_lo
	v_cmp_ngt_f32_e32 vcc_lo, 0xc2ce8ed0, v9
	v_fma_f32 v43, 0x3fb8aa3b, v12, -v27
	v_rndne_f32_e32 v44, v27
	v_cvt_i32_f32_e32 v36, v36
	v_fmac_f32_e32 v41, 0x32a5705f, v22
	v_sub_f32_e32 v26, v26, v42
	v_add_f32_e32 v25, v25, v39
	v_exp_f32_e32 v24, v24
	v_ldexp_f32 v17, v17, v34
	v_cndmask_b32_e32 v16, 0, v16, vcc_lo
	v_cmp_ngt_f32_e32 vcc_lo, 0xc2ce8ed0, v20
	v_cvt_i32_f32_e32 v38, v38
	v_fmac_f32_e32 v43, 0x32a5705f, v12
	v_sub_f32_e32 v27, v27, v44
	v_add_f32_e32 v26, v26, v41
	v_exp_f32_e32 v25, v25
	v_ldexp_f32 v18, v18, v36
	v_cndmask_b32_e32 v17, 0, v17, vcc_lo
	v_cmp_ngt_f32_e32 vcc_lo, 0xc2ce8ed0, v10
	v_cvt_i32_f32_e32 v40, v40
	v_add_f32_e32 v27, v27, v43
	v_exp_f32_e32 v26, v26
	v_ldexp_f32 v24, v24, v38
	v_cndmask_b32_e32 v18, 0, v18, vcc_lo
	v_cmp_ngt_f32_e32 vcc_lo, 0xc2ce8ed0, v21
	v_exp_f32_e32 v27, v27
	v_cvt_i32_f32_e32 v28, v42
	v_ldexp_f32 v25, v25, v40
	v_cvt_i32_f32_e32 v30, v44
	v_cndmask_b32_e32 v24, 0, v24, vcc_lo
	v_cmp_ngt_f32_e32 vcc_lo, 0xc2ce8ed0, v11
	v_ldexp_f32 v26, v26, v28
	v_cndmask_b32_e32 v25, 0, v25, vcc_lo
	v_cmp_ngt_f32_e32 vcc_lo, 0xc2ce8ed0, v22
	v_ldexp_f32 v27, v27, v30
	v_cndmask_b32_e32 v26, 0, v26, vcc_lo
	v_cmp_ngt_f32_e32 vcc_lo, 0xc2ce8ed0, v12
	v_cndmask_b32_e32 v27, 0, v27, vcc_lo
	v_cmp_nlt_f32_e32 vcc_lo, 0x42b17218, v19
	v_cndmask_b32_e32 v15, 0x7f800000, v15, vcc_lo
	v_cmp_nlt_f32_e32 vcc_lo, 0x42b17218, v9
	;; [unrolled: 2-line block ×3, first 2 shown]
	v_fmac_f32_e32 v9, v5, v15
	v_cndmask_b32_e32 v16, 0x7f800000, v17, vcc_lo
	v_cmp_nlt_f32_e32 vcc_lo, 0x42b17218, v10
	v_cvt_f16_f32_e32 v5, v15
	v_cndmask_b32_e32 v10, 0x7f800000, v18, vcc_lo
	v_cmp_nlt_f32_e32 vcc_lo, 0x42b17218, v21
	v_fmac_f32_e32 v10, v6, v16
	v_cndmask_b32_e32 v17, 0x7f800000, v24, vcc_lo
	v_cmp_nlt_f32_e32 vcc_lo, 0x42b17218, v11
	v_cvt_f16_f32_e32 v6, v16
	v_cndmask_b32_e32 v11, 0x7f800000, v25, vcc_lo
	v_cmp_nlt_f32_e32 vcc_lo, 0x42b17218, v22
	v_mul_u32_u24_sdwa v16, v6, v23 dst_sel:DWORD dst_unused:UNUSED_PAD src0_sel:WORD_0 src1_sel:DWORD
	v_mov_b32_e32 v6, v10
	v_fmac_f32_e32 v11, v7, v17
	v_cndmask_b32_e32 v18, 0x7f800000, v26, vcc_lo
	v_cmp_nlt_f32_e32 vcc_lo, 0x42b17218, v12
	v_cvt_f16_f32_e32 v7, v17
	v_pk_mul_f16 v76, v76, v16
	v_pk_mul_f16 v77, v77, v16
	v_cvt_f16_f32_e32 v15, v18
	v_cndmask_b32_e32 v12, 0x7f800000, v27, vcc_lo
	v_mul_u32_u24_sdwa v17, v7, v23 dst_sel:DWORD dst_unused:UNUSED_PAD src0_sel:WORD_0 src1_sel:DWORD
	v_mov_b32_e32 v7, v11
	v_pk_mul_f16 v74, v74, v16
	v_mul_u32_u24_sdwa v15, v15, v23 dst_sel:DWORD dst_unused:UNUSED_PAD src0_sel:WORD_0 src1_sel:DWORD
	v_fmac_f32_e32 v12, v8, v18
	v_mul_u32_u24_sdwa v8, v5, v23 dst_sel:DWORD dst_unused:UNUSED_PAD src0_sel:WORD_0 src1_sel:DWORD
	v_mov_b32_e32 v5, v9
	v_pk_mul_f16 v75, v75, v16
	v_pk_mul_f16 v72, v72, v17
	;; [unrolled: 1-line block ×13, first 2 shown]
	v_mov_b32_e32 v8, v12
.LBB0_24:
	s_load_dword s1, s[4:5], 0xd4
	v_mov_b32_e32 v15, 1.0
	s_waitcnt lgkmcnt(0)
	s_cmp_lg_u32 s1, 1
	s_cselect_b32 s3, -1, 0
	s_cmp_eq_u32 s1, 1
	s_cselect_b32 s2, -1, 0
	s_and_b32 vcc_lo, exec_lo, s3
	s_cbranch_vccnz .LBB0_26
; %bb.25:
	v_div_scale_f32 v15, null, v5, v5, 1.0
	v_rcp_f32_e32 v16, v15
	v_fma_f32 v17, -v15, v16, 1.0
	v_fmac_f32_e32 v16, v17, v16
	v_div_scale_f32 v17, vcc_lo, 1.0, v5, 1.0
	v_mul_f32_e32 v18, v17, v16
	v_fma_f32 v19, -v15, v18, v17
	v_fmac_f32_e32 v18, v19, v16
	v_fma_f32 v15, -v15, v18, v17
	v_div_fmas_f32 v15, v15, v16, v18
	v_div_fixup_f32 v15, v15, v5, 1.0
.LBB0_26:
	v_mad_u64_u32 v[16:17], null, s29, s26, v[13:14]
	v_mov_b32_e32 v25, 0
	v_cmp_eq_u32_e32 vcc_lo, 0, v0
	v_cvt_f32_f16_sdwa v0, v81 dst_sel:DWORD dst_unused:UNUSED_PAD src0_sel:WORD_1
	v_cvt_f32_f16_e32 v5, v81
	v_cvt_f32_f16_sdwa v20, v80 dst_sel:DWORD dst_unused:UNUSED_PAD src0_sel:WORD_1
	v_cvt_f32_f16_e32 v21, v80
	v_mad_u64_u32 v[13:14], null, v16, s27, v[14:15]
	v_cvt_f32_f16_e32 v16, v78
	v_cvt_f32_f16_sdwa v28, v79 dst_sel:DWORD dst_unused:UNUSED_PAD src0_sel:WORD_1
	v_cvt_f32_f16_e32 v29, v79
	v_mul_f32_e32 v19, v15, v0
	v_mul_f32_e32 v18, v15, v5
	;; [unrolled: 1-line block ×3, first 2 shown]
	v_mad_u64_u32 v[13:14], null, s1, v13, s[28:29]
	v_cvt_f32_f16_sdwa v14, v78 dst_sel:DWORD dst_unused:UNUSED_PAD src0_sel:WORD_1
	v_mul_f32_e32 v23, v15, v20
	v_mul_f32_e32 v22, v15, v21
	;; [unrolled: 1-line block ×5, first 2 shown]
	v_lshl_add_u32 v24, v13, 8, v32
	v_lshlrev_b64 v[26:27], 2, v[24:25]
	v_add_nc_u32_e32 v24, 0x80, v24
	v_lshlrev_b64 v[14:15], 2, v[24:25]
	v_add_co_u32 v24, s0, s20, v26
	v_add_co_ci_u32_e64 v25, null, s21, v27, s0
	v_add_co_u32 v14, s0, s20, v14
	v_add_co_ci_u32_e64 v15, null, s21, v15, s0
	s_and_b32 s0, vcc_lo, s3
	global_store_dwordx4 v[24:25], v[16:19], off
	global_store_dwordx4 v[14:15], v[20:23], off
	s_and_saveexec_b32 s3, s0
	s_cbranch_execz .LBB0_28
; %bb.27:
	v_ashrrev_i32_e32 v14, 31, v13
	v_mov_b32_e32 v0, v1
	v_mov_b32_e32 v1, v9
	v_lshlrev_b64 v[14:15], 3, v[13:14]
	v_add_co_u32 v14, vcc_lo, s22, v14
	v_add_co_ci_u32_e64 v15, null, s23, v15, vcc_lo
	global_store_dwordx2 v[14:15], v[0:1], off
.LBB0_28:
	s_or_b32 exec_lo, exec_lo, s3
	v_cndmask_b32_e64 v5, 0, 1, s2
	v_mov_b32_e32 v1, 1.0
	s_andn2_b32 vcc_lo, exec_lo, s2
	s_cbranch_vccnz .LBB0_30
; %bb.29:
	v_div_scale_f32 v0, null, v6, v6, 1.0
	v_rcp_f32_e32 v1, v0
	v_fma_f32 v9, -v0, v1, 1.0
	v_fmac_f32_e32 v1, v9, v1
	v_div_scale_f32 v9, vcc_lo, 1.0, v6, 1.0
	v_mul_f32_e32 v14, v9, v1
	v_fma_f32 v15, -v0, v14, v9
	v_fmac_f32_e32 v14, v15, v1
	v_fma_f32 v0, -v0, v14, v9
	v_div_fmas_f32 v0, v0, v1, v14
	v_div_fixup_f32 v1, v0, v6, 1.0
.LBB0_30:
	v_add_nc_u32_e32 v0, s1, v13
	v_mov_b32_e32 v18, 0
	v_cvt_f32_f16_sdwa v6, v77 dst_sel:DWORD dst_unused:UNUSED_PAD src0_sel:WORD_1
	v_cvt_f32_f16_e32 v9, v77
	v_cvt_f32_f16_sdwa v13, v76 dst_sel:DWORD dst_unused:UNUSED_PAD src0_sel:WORD_1
	v_lshl_add_u32 v17, v0, 8, v32
	v_cvt_f32_f16_e32 v21, v76
	v_mul_f32_e32 v16, v1, v6
	v_mul_f32_e32 v15, v1, v9
	v_cvt_f32_f16_sdwa v6, v75 dst_sel:DWORD dst_unused:UNUSED_PAD src0_sel:WORD_1
	v_lshlrev_b64 v[19:20], 2, v[17:18]
	v_add_nc_u32_e32 v17, 0x80, v17
	v_cvt_f32_f16_e32 v9, v75
	v_cvt_f32_f16_sdwa v25, v74 dst_sel:DWORD dst_unused:UNUSED_PAD src0_sel:WORD_1
	v_cvt_f32_f16_e32 v26, v74
	v_mul_f32_e32 v14, v1, v13
	v_lshlrev_b64 v[23:24], 2, v[17:18]
	v_mul_f32_e32 v13, v1, v21
	v_add_co_u32 v21, vcc_lo, s20, v19
	v_add_co_ci_u32_e64 v22, null, s21, v20, vcc_lo
	v_add_co_u32 v23, vcc_lo, s20, v23
	v_mul_f32_e32 v20, v1, v6
	v_mul_f32_e32 v19, v1, v9
	;; [unrolled: 1-line block ×4, first 2 shown]
	v_add_co_ci_u32_e64 v24, null, s21, v24, vcc_lo
	global_store_dwordx4 v[21:22], v[13:16], off
	global_store_dwordx4 v[23:24], v[17:20], off
	s_and_saveexec_b32 s2, s0
	s_cbranch_execz .LBB0_32
; %bb.31:
	v_ashrrev_i32_e32 v1, 31, v0
	v_mov_b32_e32 v9, v2
	v_lshlrev_b64 v[13:14], 3, v[0:1]
	v_add_co_u32 v13, vcc_lo, s22, v13
	v_add_co_ci_u32_e64 v14, null, s23, v14, vcc_lo
	global_store_dwordx2 v[13:14], v[9:10], off
.LBB0_32:
	s_or_b32 exec_lo, exec_lo, s2
	v_cmp_ne_u32_e32 vcc_lo, 1, v5
	v_mov_b32_e32 v1, 1.0
	s_cbranch_vccnz .LBB0_34
; %bb.33:
	v_div_scale_f32 v1, null, v7, v7, 1.0
	v_rcp_f32_e32 v2, v1
	v_fma_f32 v6, -v1, v2, 1.0
	v_fmac_f32_e32 v2, v6, v2
	v_div_scale_f32 v6, vcc_lo, 1.0, v7, 1.0
	v_mul_f32_e32 v9, v6, v2
	v_fma_f32 v10, -v1, v9, v6
	v_fmac_f32_e32 v9, v10, v2
	v_fma_f32 v1, -v1, v9, v6
	v_div_fmas_f32 v1, v1, v2, v9
	v_div_fixup_f32 v1, v1, v7, 1.0
.LBB0_34:
	v_add_nc_u32_e32 v0, s1, v0
	v_mov_b32_e32 v7, 0
	v_cvt_f32_f16_sdwa v2, v73 dst_sel:DWORD dst_unused:UNUSED_PAD src0_sel:WORD_1
	v_cvt_f32_f16_e32 v13, v73
	v_cvt_f32_f16_e32 v17, v72
	v_lshl_add_u32 v6, v0, 8, v32
	v_cvt_f32_f16_sdwa v14, v72 dst_sel:DWORD dst_unused:UNUSED_PAD src0_sel:WORD_1
	v_mul_f32_e32 v16, v1, v2
	v_mul_f32_e32 v15, v1, v13
	;; [unrolled: 1-line block ×3, first 2 shown]
	v_lshlrev_b64 v[9:10], 2, v[6:7]
	v_add_nc_u32_e32 v6, 0x80, v6
	v_cvt_f32_f16_sdwa v2, v71 dst_sel:DWORD dst_unused:UNUSED_PAD src0_sel:WORD_1
	v_cvt_f32_f16_e32 v17, v71
	v_cvt_f32_f16_sdwa v18, v70 dst_sel:DWORD dst_unused:UNUSED_PAD src0_sel:WORD_1
	v_cvt_f32_f16_e32 v21, v70
	v_lshlrev_b64 v[6:7], 2, v[6:7]
	v_add_co_u32 v9, vcc_lo, s20, v9
	v_mul_f32_e32 v14, v1, v14
	v_add_co_ci_u32_e64 v10, null, s21, v10, vcc_lo
	v_mul_f32_e32 v20, v1, v2
	v_mul_f32_e32 v19, v1, v17
	;; [unrolled: 1-line block ×4, first 2 shown]
	v_add_co_u32 v1, vcc_lo, s20, v6
	v_add_co_ci_u32_e64 v2, null, s21, v7, vcc_lo
	global_store_dwordx4 v[9:10], v[13:16], off
	global_store_dwordx4 v[1:2], v[17:20], off
	s_and_saveexec_b32 s2, s0
	s_cbranch_execz .LBB0_36
; %bb.35:
	v_ashrrev_i32_e32 v1, 31, v0
	v_mov_b32_e32 v10, v3
	v_lshlrev_b64 v[1:2], 3, v[0:1]
	v_add_co_u32 v1, vcc_lo, s22, v1
	v_add_co_ci_u32_e64 v2, null, s23, v2, vcc_lo
	global_store_dwordx2 v[1:2], v[10:11], off
.LBB0_36:
	s_or_b32 exec_lo, exec_lo, s2
	v_cmp_ne_u32_e32 vcc_lo, 1, v5
	v_mov_b32_e32 v1, 1.0
	s_cbranch_vccnz .LBB0_38
; %bb.37:
	v_div_scale_f32 v1, null, v8, v8, 1.0
	v_rcp_f32_e32 v2, v1
	v_fma_f32 v3, -v1, v2, 1.0
	v_fmac_f32_e32 v2, v3, v2
	v_div_scale_f32 v3, vcc_lo, 1.0, v8, 1.0
	v_mul_f32_e32 v5, v3, v2
	v_fma_f32 v6, -v1, v5, v3
	v_fmac_f32_e32 v5, v6, v2
	v_fma_f32 v1, -v1, v5, v3
	v_div_fmas_f32 v1, v1, v2, v5
	v_div_fixup_f32 v1, v1, v8, 1.0
.LBB0_38:
	v_add_nc_u32_e32 v0, s1, v0
	v_mov_b32_e32 v3, 0
	v_cvt_f32_f16_sdwa v5, v69 dst_sel:DWORD dst_unused:UNUSED_PAD src0_sel:WORD_1
	v_cvt_f32_f16_e32 v6, v69
	v_cvt_f32_f16_sdwa v11, v68 dst_sel:DWORD dst_unused:UNUSED_PAD src0_sel:WORD_1
	v_lshl_add_u32 v2, v0, 8, v32
	v_cvt_f32_f16_e32 v13, v68
	v_mul_f32_e32 v8, v1, v5
	v_mul_f32_e32 v7, v1, v6
	;; [unrolled: 1-line block ×3, first 2 shown]
	v_lshlrev_b64 v[9:10], 2, v[2:3]
	v_add_nc_u32_e32 v2, 0x80, v2
	v_mul_f32_e32 v5, v1, v13
	v_cvt_f32_f16_sdwa v11, v66 dst_sel:DWORD dst_unused:UNUSED_PAD src0_sel:WORD_1
	v_cvt_f32_f16_e32 v13, v66
	v_cvt_f32_f16_sdwa v14, v67 dst_sel:DWORD dst_unused:UNUSED_PAD src0_sel:WORD_1
	v_lshlrev_b64 v[2:3], 2, v[2:3]
	v_cvt_f32_f16_e32 v17, v67
	v_add_co_u32 v9, vcc_lo, s20, v9
	v_add_co_ci_u32_e64 v10, null, s21, v10, vcc_lo
	v_mul_f32_e32 v16, v1, v11
	v_mul_f32_e32 v15, v1, v13
	;; [unrolled: 1-line block ×4, first 2 shown]
	v_add_co_u32 v1, vcc_lo, s20, v2
	v_add_co_ci_u32_e64 v2, null, s21, v3, vcc_lo
	global_store_dwordx4 v[9:10], v[5:8], off
	global_store_dwordx4 v[1:2], v[13:16], off
	s_and_saveexec_b32 s1, s0
	s_cbranch_execz .LBB0_40
; %bb.39:
	v_ashrrev_i32_e32 v1, 31, v0
	v_mov_b32_e32 v11, v4
	v_lshlrev_b64 v[0:1], 3, v[0:1]
	v_add_co_u32 v0, vcc_lo, s22, v0
	v_add_co_ci_u32_e64 v1, null, s23, v1, vcc_lo
	global_store_dwordx2 v[0:1], v[11:12], off
.LBB0_40:
	s_endpgm
	.section	.rodata,"a",@progbits
	.p2align	6, 0x0
	.amdhsa_kernel _ZL15flash_attn_tileILi320ELi256ELi1ELi32ELb0EEvPKcS1_S1_S1_S1_PKiPfP15HIP_vector_typeIfLj2EEffffjfiS5_IjLj3EEiiiiiiiiiiiliiliiiiil
		.amdhsa_group_segment_fixed_size 47104
		.amdhsa_private_segment_fixed_size 0
		.amdhsa_kernarg_size 464
		.amdhsa_user_sgpr_count 6
		.amdhsa_user_sgpr_private_segment_buffer 1
		.amdhsa_user_sgpr_dispatch_ptr 0
		.amdhsa_user_sgpr_queue_ptr 0
		.amdhsa_user_sgpr_kernarg_segment_ptr 1
		.amdhsa_user_sgpr_dispatch_id 0
		.amdhsa_user_sgpr_flat_scratch_init 0
		.amdhsa_user_sgpr_private_segment_size 0
		.amdhsa_wavefront_size32 1
		.amdhsa_uses_dynamic_stack 0
		.amdhsa_system_sgpr_private_segment_wavefront_offset 0
		.amdhsa_system_sgpr_workgroup_id_x 1
		.amdhsa_system_sgpr_workgroup_id_y 1
		.amdhsa_system_sgpr_workgroup_id_z 1
		.amdhsa_system_sgpr_workgroup_info 0
		.amdhsa_system_vgpr_workitem_id 1
		.amdhsa_next_free_vgpr 193
		.amdhsa_next_free_sgpr 40
		.amdhsa_reserve_vcc 1
		.amdhsa_reserve_flat_scratch 0
		.amdhsa_float_round_mode_32 0
		.amdhsa_float_round_mode_16_64 0
		.amdhsa_float_denorm_mode_32 3
		.amdhsa_float_denorm_mode_16_64 3
		.amdhsa_dx10_clamp 1
		.amdhsa_ieee_mode 1
		.amdhsa_fp16_overflow 0
		.amdhsa_workgroup_processor_mode 1
		.amdhsa_memory_ordered 1
		.amdhsa_forward_progress 1
		.amdhsa_shared_vgpr_count 0
		.amdhsa_exception_fp_ieee_invalid_op 0
		.amdhsa_exception_fp_denorm_src 0
		.amdhsa_exception_fp_ieee_div_zero 0
		.amdhsa_exception_fp_ieee_overflow 0
		.amdhsa_exception_fp_ieee_underflow 0
		.amdhsa_exception_fp_ieee_inexact 0
		.amdhsa_exception_int_div_zero 0
	.end_amdhsa_kernel
	.section	.text._ZL15flash_attn_tileILi320ELi256ELi1ELi32ELb0EEvPKcS1_S1_S1_S1_PKiPfP15HIP_vector_typeIfLj2EEffffjfiS5_IjLj3EEiiiiiiiiiiiliiliiiiil,"axG",@progbits,_ZL15flash_attn_tileILi320ELi256ELi1ELi32ELb0EEvPKcS1_S1_S1_S1_PKiPfP15HIP_vector_typeIfLj2EEffffjfiS5_IjLj3EEiiiiiiiiiiiliiliiiiil,comdat
.Lfunc_end0:
	.size	_ZL15flash_attn_tileILi320ELi256ELi1ELi32ELb0EEvPKcS1_S1_S1_S1_PKiPfP15HIP_vector_typeIfLj2EEffffjfiS5_IjLj3EEiiiiiiiiiiiliiliiiiil, .Lfunc_end0-_ZL15flash_attn_tileILi320ELi256ELi1ELi32ELb0EEvPKcS1_S1_S1_S1_PKiPfP15HIP_vector_typeIfLj2EEffffjfiS5_IjLj3EEiiiiiiiiiiiliiliiiiil
                                        ; -- End function
	.set _ZL15flash_attn_tileILi320ELi256ELi1ELi32ELb0EEvPKcS1_S1_S1_S1_PKiPfP15HIP_vector_typeIfLj2EEffffjfiS5_IjLj3EEiiiiiiiiiiiliiliiiiil.num_vgpr, 130
	.set _ZL15flash_attn_tileILi320ELi256ELi1ELi32ELb0EEvPKcS1_S1_S1_S1_PKiPfP15HIP_vector_typeIfLj2EEffffjfiS5_IjLj3EEiiiiiiiiiiiliiliiiiil.num_agpr, 0
	.set _ZL15flash_attn_tileILi320ELi256ELi1ELi32ELb0EEvPKcS1_S1_S1_S1_PKiPfP15HIP_vector_typeIfLj2EEffffjfiS5_IjLj3EEiiiiiiiiiiiliiliiiiil.numbered_sgpr, 40
	.set _ZL15flash_attn_tileILi320ELi256ELi1ELi32ELb0EEvPKcS1_S1_S1_S1_PKiPfP15HIP_vector_typeIfLj2EEffffjfiS5_IjLj3EEiiiiiiiiiiiliiliiiiil.num_named_barrier, 0
	.set _ZL15flash_attn_tileILi320ELi256ELi1ELi32ELb0EEvPKcS1_S1_S1_S1_PKiPfP15HIP_vector_typeIfLj2EEffffjfiS5_IjLj3EEiiiiiiiiiiiliiliiiiil.private_seg_size, 0
	.set _ZL15flash_attn_tileILi320ELi256ELi1ELi32ELb0EEvPKcS1_S1_S1_S1_PKiPfP15HIP_vector_typeIfLj2EEffffjfiS5_IjLj3EEiiiiiiiiiiiliiliiiiil.uses_vcc, 1
	.set _ZL15flash_attn_tileILi320ELi256ELi1ELi32ELb0EEvPKcS1_S1_S1_S1_PKiPfP15HIP_vector_typeIfLj2EEffffjfiS5_IjLj3EEiiiiiiiiiiiliiliiiiil.uses_flat_scratch, 0
	.set _ZL15flash_attn_tileILi320ELi256ELi1ELi32ELb0EEvPKcS1_S1_S1_S1_PKiPfP15HIP_vector_typeIfLj2EEffffjfiS5_IjLj3EEiiiiiiiiiiiliiliiiiil.has_dyn_sized_stack, 0
	.set _ZL15flash_attn_tileILi320ELi256ELi1ELi32ELb0EEvPKcS1_S1_S1_S1_PKiPfP15HIP_vector_typeIfLj2EEffffjfiS5_IjLj3EEiiiiiiiiiiiliiliiiiil.has_recursion, 0
	.set _ZL15flash_attn_tileILi320ELi256ELi1ELi32ELb0EEvPKcS1_S1_S1_S1_PKiPfP15HIP_vector_typeIfLj2EEffffjfiS5_IjLj3EEiiiiiiiiiiiliiliiiiil.has_indirect_call, 0
	.section	.AMDGPU.csdata,"",@progbits
; Kernel info:
; codeLenInByte = 88564
; TotalNumSgprs: 42
; NumVgprs: 130
; ScratchSize: 0
; MemoryBound: 0
; FloatMode: 240
; IeeeMode: 1
; LDSByteSize: 47104 bytes/workgroup (compile time only)
; SGPRBlocks: 0
; VGPRBlocks: 24
; NumSGPRsForWavesPerEU: 42
; NumVGPRsForWavesPerEU: 193
; Occupancy: 4
; WaveLimiterHint : 1
; COMPUTE_PGM_RSRC2:SCRATCH_EN: 0
; COMPUTE_PGM_RSRC2:USER_SGPR: 6
; COMPUTE_PGM_RSRC2:TRAP_HANDLER: 0
; COMPUTE_PGM_RSRC2:TGID_X_EN: 1
; COMPUTE_PGM_RSRC2:TGID_Y_EN: 1
; COMPUTE_PGM_RSRC2:TGID_Z_EN: 1
; COMPUTE_PGM_RSRC2:TIDIG_COMP_CNT: 1
	.section	.text._ZL25flash_attn_mask_to_KV_maxILi1EEvPK7__half2Piiii,"axG",@progbits,_ZL25flash_attn_mask_to_KV_maxILi1EEvPK7__half2Piiii,comdat
	.globl	_ZL25flash_attn_mask_to_KV_maxILi1EEvPK7__half2Piiii ; -- Begin function _ZL25flash_attn_mask_to_KV_maxILi1EEvPK7__half2Piiii
	.p2align	8
	.type	_ZL25flash_attn_mask_to_KV_maxILi1EEvPK7__half2Piiii,@function
_ZL25flash_attn_mask_to_KV_maxILi1EEvPK7__half2Piiii: ; @_ZL25flash_attn_mask_to_KV_maxILi1EEvPK7__half2Piiii
; %bb.0:
	s_load_dwordx4 s[8:11], s[4:5], 0x0
	s_mov_b32 s0, exec_lo
	v_cmpx_gt_u32_e32 32, v0
; %bb.1:
	v_lshlrev_b32_e32 v1, 2, v0
	v_mov_b32_e32 v2, 1
	ds_write_b32 v1, v2
; %bb.2:
	s_or_b32 exec_lo, exec_lo, s0
	s_clause 0x1
	s_load_dwordx4 s[12:15], s[4:5], 0x10
	s_load_dword s1, s[4:5], 0x20
	v_and_b32_e32 v1, 31, v0
	v_lshrrev_b32_e32 v3, 3, v0
	v_mov_b32_e32 v2, 0
	v_mov_b32_e32 v4, 0x204
	s_waitcnt lgkmcnt(0)
	v_lshlrev_b32_e32 v5, 2, v1
	s_barrier
	buffer_gl0_inv
	s_mul_i32 s0, s14, s7
	s_mul_i32 s2, s13, s6
	s_add_i32 s2, s0, s2
	v_cmp_eq_u32_e64 s0, 0, v1
	s_ashr_i32 s3, s2, 31
	s_lshl_b64 s[4:5], s[2:3], 2
	s_add_u32 s3, s8, s4
	s_addc_u32 s4, s9, s5
	s_lshl_b32 s5, s12, 8
	s_branch .LBB1_4
	.p2align	6
.LBB1_3:                                ;   in Loop: Header=BB1_4 Depth=1
	s_or_b32 exec_lo, exec_lo, s9
	s_waitcnt lgkmcnt(0)
	s_barrier
	buffer_gl0_inv
	ds_read_b32 v1, v5
	s_waitcnt lgkmcnt(0)
	s_barrier
	buffer_gl0_inv
	v_cmp_ne_u32_e32 vcc_lo, 0, v1
	s_cmp_lg_u32 vcc_lo, exec_lo
	s_cselect_b32 s8, -1, 0
	s_and_b32 vcc_lo, exec_lo, s8
	s_cbranch_vccnz .LBB1_8
.LBB1_4:                                ; =>This Inner Loop Header: Depth=1
	s_mov_b32 s2, s5
	s_addk_i32 s5, 0xff00
	s_cmp_lt_i32 s5, 0
	s_cbranch_scc1 .LBB1_7
; %bb.5:                                ;   in Loop: Header=BB1_4 Depth=1
	s_lshr_b32 s9, s5, 1
	s_mov_b32 s8, exec_lo
	v_add_nc_u32_e32 v1, s9, v0
	v_lshlrev_b64 v[6:7], 2, v[1:2]
	v_add_co_u32 v6, vcc_lo, s3, v6
	v_add_co_ci_u32_e64 v7, null, s4, v7, vcc_lo
	global_load_dword v1, v[6:7], off
	s_waitcnt vmcnt(0)
	v_cmp_class_f16_e64 s9, v1, 0x204
	v_cmp_class_f16_sdwa s12, v1, v4 src0_sel:WORD_1 src1_sel:DWORD
	s_and_b32 s9, s9, s12
	v_cndmask_b32_e64 v1, 0, 1, s9
	v_cmp_ne_u32_e32 vcc_lo, 0, v1
	s_and_saveexec_b32 s9, s0
	s_cbranch_execz .LBB1_3
; %bb.6:                                ;   in Loop: Header=BB1_4 Depth=1
	s_cmp_eq_u32 vcc_lo, s8
	s_cselect_b32 s8, -1, 0
	v_cndmask_b32_e64 v1, 0, 1, s8
	ds_write_b32 v3, v1
	s_branch .LBB1_3
.LBB1_7:                                ;   in Loop: Header=BB1_4 Depth=1
	s_cbranch_execz .LBB1_4
.LBB1_8:
	s_mov_b32 s0, exec_lo
	v_cmpx_eq_u32_e32 0, v0
	s_cbranch_execz .LBB1_10
; %bb.9:
	s_mul_i32 s0, s1, s7
	v_mov_b32_e32 v0, 0
	s_add_i32 s0, s0, s6
	v_mov_b32_e32 v1, s2
	s_ashr_i32 s1, s0, 31
	s_lshl_b64 s[0:1], s[0:1], 2
	s_add_u32 s0, s10, s0
	s_addc_u32 s1, s11, s1
	global_store_dword v0, v1, s[0:1]
.LBB1_10:
	s_endpgm
	.section	.rodata,"a",@progbits
	.p2align	6, 0x0
	.amdhsa_kernel _ZL25flash_attn_mask_to_KV_maxILi1EEvPK7__half2Piiii
		.amdhsa_group_segment_fixed_size 128
		.amdhsa_private_segment_fixed_size 0
		.amdhsa_kernarg_size 288
		.amdhsa_user_sgpr_count 6
		.amdhsa_user_sgpr_private_segment_buffer 1
		.amdhsa_user_sgpr_dispatch_ptr 0
		.amdhsa_user_sgpr_queue_ptr 0
		.amdhsa_user_sgpr_kernarg_segment_ptr 1
		.amdhsa_user_sgpr_dispatch_id 0
		.amdhsa_user_sgpr_flat_scratch_init 0
		.amdhsa_user_sgpr_private_segment_size 0
		.amdhsa_wavefront_size32 1
		.amdhsa_uses_dynamic_stack 0
		.amdhsa_system_sgpr_private_segment_wavefront_offset 0
		.amdhsa_system_sgpr_workgroup_id_x 1
		.amdhsa_system_sgpr_workgroup_id_y 1
		.amdhsa_system_sgpr_workgroup_id_z 0
		.amdhsa_system_sgpr_workgroup_info 0
		.amdhsa_system_vgpr_workitem_id 0
		.amdhsa_next_free_vgpr 8
		.amdhsa_next_free_sgpr 16
		.amdhsa_reserve_vcc 1
		.amdhsa_reserve_flat_scratch 0
		.amdhsa_float_round_mode_32 0
		.amdhsa_float_round_mode_16_64 0
		.amdhsa_float_denorm_mode_32 3
		.amdhsa_float_denorm_mode_16_64 3
		.amdhsa_dx10_clamp 1
		.amdhsa_ieee_mode 1
		.amdhsa_fp16_overflow 0
		.amdhsa_workgroup_processor_mode 1
		.amdhsa_memory_ordered 1
		.amdhsa_forward_progress 1
		.amdhsa_shared_vgpr_count 0
		.amdhsa_exception_fp_ieee_invalid_op 0
		.amdhsa_exception_fp_denorm_src 0
		.amdhsa_exception_fp_ieee_div_zero 0
		.amdhsa_exception_fp_ieee_overflow 0
		.amdhsa_exception_fp_ieee_underflow 0
		.amdhsa_exception_fp_ieee_inexact 0
		.amdhsa_exception_int_div_zero 0
	.end_amdhsa_kernel
	.section	.text._ZL25flash_attn_mask_to_KV_maxILi1EEvPK7__half2Piiii,"axG",@progbits,_ZL25flash_attn_mask_to_KV_maxILi1EEvPK7__half2Piiii,comdat
.Lfunc_end1:
	.size	_ZL25flash_attn_mask_to_KV_maxILi1EEvPK7__half2Piiii, .Lfunc_end1-_ZL25flash_attn_mask_to_KV_maxILi1EEvPK7__half2Piiii
                                        ; -- End function
	.set _ZL25flash_attn_mask_to_KV_maxILi1EEvPK7__half2Piiii.num_vgpr, 8
	.set _ZL25flash_attn_mask_to_KV_maxILi1EEvPK7__half2Piiii.num_agpr, 0
	.set _ZL25flash_attn_mask_to_KV_maxILi1EEvPK7__half2Piiii.numbered_sgpr, 16
	.set _ZL25flash_attn_mask_to_KV_maxILi1EEvPK7__half2Piiii.num_named_barrier, 0
	.set _ZL25flash_attn_mask_to_KV_maxILi1EEvPK7__half2Piiii.private_seg_size, 0
	.set _ZL25flash_attn_mask_to_KV_maxILi1EEvPK7__half2Piiii.uses_vcc, 1
	.set _ZL25flash_attn_mask_to_KV_maxILi1EEvPK7__half2Piiii.uses_flat_scratch, 0
	.set _ZL25flash_attn_mask_to_KV_maxILi1EEvPK7__half2Piiii.has_dyn_sized_stack, 0
	.set _ZL25flash_attn_mask_to_KV_maxILi1EEvPK7__half2Piiii.has_recursion, 0
	.set _ZL25flash_attn_mask_to_KV_maxILi1EEvPK7__half2Piiii.has_indirect_call, 0
	.section	.AMDGPU.csdata,"",@progbits
; Kernel info:
; codeLenInByte = 452
; TotalNumSgprs: 18
; NumVgprs: 8
; ScratchSize: 0
; MemoryBound: 0
; FloatMode: 240
; IeeeMode: 1
; LDSByteSize: 128 bytes/workgroup (compile time only)
; SGPRBlocks: 0
; VGPRBlocks: 0
; NumSGPRsForWavesPerEU: 18
; NumVGPRsForWavesPerEU: 8
; Occupancy: 16
; WaveLimiterHint : 0
; COMPUTE_PGM_RSRC2:SCRATCH_EN: 0
; COMPUTE_PGM_RSRC2:USER_SGPR: 6
; COMPUTE_PGM_RSRC2:TRAP_HANDLER: 0
; COMPUTE_PGM_RSRC2:TGID_X_EN: 1
; COMPUTE_PGM_RSRC2:TGID_Y_EN: 1
; COMPUTE_PGM_RSRC2:TGID_Z_EN: 0
; COMPUTE_PGM_RSRC2:TIDIG_COMP_CNT: 0
	.section	.text._ZL33flash_attn_stream_k_fixup_uniformILi256ELi1ELi32EEvPfPK15HIP_vector_typeIfLj2EEiiiiiiS1_IjLj3EES5_S5_,"axG",@progbits,_ZL33flash_attn_stream_k_fixup_uniformILi256ELi1ELi32EEvPfPK15HIP_vector_typeIfLj2EEiiiiiiS1_IjLj3EES5_S5_,comdat
	.globl	_ZL33flash_attn_stream_k_fixup_uniformILi256ELi1ELi32EEvPfPK15HIP_vector_typeIfLj2EEiiiiiiS1_IjLj3EES5_S5_ ; -- Begin function _ZL33flash_attn_stream_k_fixup_uniformILi256ELi1ELi32EEvPfPK15HIP_vector_typeIfLj2EEiiiiiiS1_IjLj3EES5_S5_
	.p2align	8
	.type	_ZL33flash_attn_stream_k_fixup_uniformILi256ELi1ELi32EEvPfPK15HIP_vector_typeIfLj2EEiiiiiiS1_IjLj3EES5_S5_,@function
_ZL33flash_attn_stream_k_fixup_uniformILi256ELi1ELi32EEvPfPK15HIP_vector_typeIfLj2EEiiiiiiS1_IjLj3EES5_S5_: ; @_ZL33flash_attn_stream_k_fixup_uniformILi256ELi1ELi32EEvPfPK15HIP_vector_typeIfLj2EEiiiiiiS1_IjLj3EES5_S5_
; %bb.0:
	s_clause 0x1
	s_load_dwordx8 s[12:19], s[4:5], 0x1c
	s_load_dwordx4 s[0:3], s[4:5], 0x3c
	s_waitcnt lgkmcnt(0)
	s_mul_hi_u32 s9, s15, s6
	s_add_i32 s9, s6, s9
	s_lshr_b32 s9, s9, s16
	s_mul_i32 s10, s9, s17
	s_sub_i32 s16, s6, s10
	s_load_dwordx2 s[10:11], s[4:5], 0x10
	s_mul_hi_u32 s15, s16, s18
	s_add_i32 s15, s16, s15
	s_lshr_b32 s15, s15, s19
	s_mul_i32 s0, s15, s0
	s_sub_i32 s0, s16, s0
	s_mul_hi_u32 s1, s0, s1
	s_add_i32 s1, s0, s1
	s_lshr_b32 s1, s1, s2
	s_mul_i32 s2, s1, s3
	s_lshl_b32 s17, s1, 5
	s_sub_i32 s16, s0, s2
	s_add_i32 s16, s16, s7
	s_waitcnt lgkmcnt(0)
	s_cmp_lt_i32 s16, s10
	s_cselect_b32 s0, -1, 0
	s_add_i32 s17, s17, s8
	s_cmp_lt_i32 s17, s13
	s_cselect_b32 s1, -1, 0
	s_and_b32 s0, s0, s1
	s_andn2_b32 vcc_lo, exec_lo, s0
	s_cbranch_vccnz .LBB2_6
; %bb.1:
	s_mul_i32 s9, s9, s10
	s_load_dwordx4 s[0:3], s[4:5], 0x0
	s_mul_i32 s15, s15, s13
	s_add_i32 s4, s16, s9
	s_add_i32 s5, s17, s15
	s_mul_i32 s4, s4, s11
	s_add_i32 s5, s5, s4
	s_mul_i32 s4, s14, s6
	v_lshl_or_b32 v1, s5, 8, v0
	s_add_i32 s10, s4, s14
	v_ashrrev_i32_e32 v2, 31, v1
	v_lshlrev_b64 v[1:2], 2, v[1:2]
	s_waitcnt lgkmcnt(0)
	v_add_co_u32 v1, vcc_lo, s0, v1
	v_add_co_ci_u32_e64 v2, null, s1, v2, vcc_lo
	s_add_i32 s0, s7, s10
	s_lshl_b32 s0, s0, 5
	global_load_dword v5, v[1:2], off
	s_add_i32 s0, s0, s8
	s_sub_i32 s0, s0, 32
	s_ashr_i32 s1, s0, 31
	s_lshl_b64 s[0:1], s[0:1], 3
	s_add_u32 s0, s2, s0
	s_addc_u32 s1, s3, s1
	s_add_i32 s5, s10, -2
	s_load_dword s11, s[0:1], 0x4
	s_cmp_lt_i32 s5, s4
	s_cbranch_scc1 .LBB2_4
; %bb.2:
	s_lshl_b32 s16, s12, 7
	s_load_dword s13, s[0:1], 0x0
	s_ashr_i32 s17, s16, 31
	s_waitcnt lgkmcnt(0)
	v_mov_b32_e32 v6, s11
	s_lshl_b64 s[0:1], s[16:17], 2
	s_add_u32 s5, s2, s0
	s_addc_u32 s9, s3, s1
	s_add_i32 s6, s6, 1
	s_lshl_b32 s0, s8, 8
	s_lshl_b32 s1, s7, 13
	s_mul_i32 s6, s14, s6
	s_add_i32 s0, s0, s1
	s_lshl_b32 s1, s6, 13
	s_add_i32 s6, s10, -1
	s_add_i32 s0, s0, s1
	s_add_i32 s1, s7, s12
	v_or_b32_e32 v0, s0, v0
	s_add_i32 s1, s1, s10
	s_lshl_b32 s0, s1, 5
	v_add_nc_u32_e32 v3, 0xffffc000, v0
	v_mov_b32_e32 v0, s13
	s_add_i32 s8, s8, s0
	s_sub_i32 s0, s8, 64
.LBB2_3:                                ; =>This Inner Loop Header: Depth=1
	v_ashrrev_i32_e32 v4, 31, v3
	s_ashr_i32 s1, s0, 31
	s_lshl_b64 s[10:11], s[0:1], 3
	s_add_u32 s10, s2, s10
	v_lshlrev_b64 v[7:8], 2, v[3:4]
	s_addc_u32 s11, s3, s11
	v_add_nc_u32_e32 v3, 0xffffe000, v3
	s_add_i32 s6, s6, -1
	s_sub_i32 s0, s0, 32
	s_cmp_le_i32 s6, s4
	v_add_co_u32 v7, vcc_lo, s5, v7
	v_add_co_ci_u32_e64 v8, null, s9, v8, vcc_lo
	s_load_dwordx2 s[10:11], s[10:11], 0x0
	global_load_dword v4, v[7:8], off
	v_max_f32_e32 v7, v0, v0
	s_waitcnt lgkmcnt(0)
	v_max_f32_e64 v8, s10, s10
	v_max_f32_e32 v7, v7, v8
	v_sub_f32_e32 v8, s10, v7
	v_sub_f32_e32 v0, v0, v7
	v_mul_f32_e32 v9, 0x3fb8aa3b, v8
	v_mul_f32_e32 v12, 0x3fb8aa3b, v0
	v_cmp_ngt_f32_e32 vcc_lo, 0xc2ce8ed0, v8
	v_fma_f32 v10, 0x3fb8aa3b, v8, -v9
	v_rndne_f32_e32 v11, v9
	v_fma_f32 v13, 0x3fb8aa3b, v0, -v12
	v_rndne_f32_e32 v14, v12
	v_fmac_f32_e32 v10, 0x32a5705f, v8
	v_sub_f32_e32 v9, v9, v11
	v_fmac_f32_e32 v13, 0x32a5705f, v0
	v_cvt_i32_f32_e32 v11, v11
	v_add_f32_e32 v9, v9, v10
	v_sub_f32_e32 v10, v12, v14
	v_exp_f32_e32 v9, v9
	v_add_f32_e32 v10, v10, v13
	v_exp_f32_e32 v10, v10
	v_ldexp_f32 v9, v9, v11
	v_cvt_i32_f32_e32 v11, v14
	v_cndmask_b32_e32 v9, 0, v9, vcc_lo
	v_cmp_nlt_f32_e32 vcc_lo, 0x42b17218, v8
	v_ldexp_f32 v10, v10, v11
	v_mov_b32_e32 v11, v6
	v_cndmask_b32_e32 v9, 0x7f800000, v9, vcc_lo
	v_cmp_ngt_f32_e32 vcc_lo, 0xc2ce8ed0, v0
	v_cndmask_b32_e32 v10, 0, v10, vcc_lo
	v_cmp_le_f32_e32 vcc_lo, 0xc1a00000, v8
	v_cndmask_b32_e32 v8, 0, v9, vcc_lo
	v_cmp_nlt_f32_e32 vcc_lo, 0x42b17218, v0
	s_waitcnt vmcnt(1)
	v_mov_b32_e32 v9, v5
	v_cndmask_b32_e32 v5, 0x7f800000, v10, vcc_lo
	v_mul_f32_e32 v10, s11, v8
	v_cmp_le_f32_e32 vcc_lo, 0xc1a00000, v0
	v_mov_b32_e32 v0, v7
	v_mov_b32_e32 v6, v10
	v_cndmask_b32_e32 v12, 0, v5, vcc_lo
	v_fmac_f32_e32 v6, v11, v12
	s_waitcnt vmcnt(0)
	v_mul_f32_e32 v5, v4, v8
	v_fmac_f32_e32 v5, v9, v12
	s_cbranch_scc0 .LBB2_3
	s_branch .LBB2_5
.LBB2_4:
	s_waitcnt lgkmcnt(0)
	v_mov_b32_e32 v6, s11
.LBB2_5:
	s_waitcnt vmcnt(0)
	v_div_scale_f32 v0, null, v6, v6, v5
	v_rcp_f32_e32 v3, v0
	v_fma_f32 v4, -v0, v3, 1.0
	v_fmac_f32_e32 v3, v4, v3
	v_div_scale_f32 v4, vcc_lo, v5, v6, v5
	v_mul_f32_e32 v7, v4, v3
	v_fma_f32 v8, -v0, v7, v4
	v_fmac_f32_e32 v7, v8, v3
	v_fma_f32 v0, -v0, v7, v4
	v_div_fmas_f32 v0, v0, v3, v7
	v_div_fixup_f32 v0, v0, v6, v5
	global_store_dword v[1:2], v0, off
.LBB2_6:
	s_endpgm
	.section	.rodata,"a",@progbits
	.p2align	6, 0x0
	.amdhsa_kernel _ZL33flash_attn_stream_k_fixup_uniformILi256ELi1ELi32EEvPfPK15HIP_vector_typeIfLj2EEiiiiiiS1_IjLj3EES5_S5_
		.amdhsa_group_segment_fixed_size 0
		.amdhsa_private_segment_fixed_size 0
		.amdhsa_kernarg_size 76
		.amdhsa_user_sgpr_count 6
		.amdhsa_user_sgpr_private_segment_buffer 1
		.amdhsa_user_sgpr_dispatch_ptr 0
		.amdhsa_user_sgpr_queue_ptr 0
		.amdhsa_user_sgpr_kernarg_segment_ptr 1
		.amdhsa_user_sgpr_dispatch_id 0
		.amdhsa_user_sgpr_flat_scratch_init 0
		.amdhsa_user_sgpr_private_segment_size 0
		.amdhsa_wavefront_size32 1
		.amdhsa_uses_dynamic_stack 0
		.amdhsa_system_sgpr_private_segment_wavefront_offset 0
		.amdhsa_system_sgpr_workgroup_id_x 1
		.amdhsa_system_sgpr_workgroup_id_y 1
		.amdhsa_system_sgpr_workgroup_id_z 1
		.amdhsa_system_sgpr_workgroup_info 0
		.amdhsa_system_vgpr_workitem_id 0
		.amdhsa_next_free_vgpr 15
		.amdhsa_next_free_sgpr 20
		.amdhsa_reserve_vcc 1
		.amdhsa_reserve_flat_scratch 0
		.amdhsa_float_round_mode_32 0
		.amdhsa_float_round_mode_16_64 0
		.amdhsa_float_denorm_mode_32 3
		.amdhsa_float_denorm_mode_16_64 3
		.amdhsa_dx10_clamp 1
		.amdhsa_ieee_mode 1
		.amdhsa_fp16_overflow 0
		.amdhsa_workgroup_processor_mode 1
		.amdhsa_memory_ordered 1
		.amdhsa_forward_progress 1
		.amdhsa_shared_vgpr_count 0
		.amdhsa_exception_fp_ieee_invalid_op 0
		.amdhsa_exception_fp_denorm_src 0
		.amdhsa_exception_fp_ieee_div_zero 0
		.amdhsa_exception_fp_ieee_overflow 0
		.amdhsa_exception_fp_ieee_underflow 0
		.amdhsa_exception_fp_ieee_inexact 0
		.amdhsa_exception_int_div_zero 0
	.end_amdhsa_kernel
	.section	.text._ZL33flash_attn_stream_k_fixup_uniformILi256ELi1ELi32EEvPfPK15HIP_vector_typeIfLj2EEiiiiiiS1_IjLj3EES5_S5_,"axG",@progbits,_ZL33flash_attn_stream_k_fixup_uniformILi256ELi1ELi32EEvPfPK15HIP_vector_typeIfLj2EEiiiiiiS1_IjLj3EES5_S5_,comdat
.Lfunc_end2:
	.size	_ZL33flash_attn_stream_k_fixup_uniformILi256ELi1ELi32EEvPfPK15HIP_vector_typeIfLj2EEiiiiiiS1_IjLj3EES5_S5_, .Lfunc_end2-_ZL33flash_attn_stream_k_fixup_uniformILi256ELi1ELi32EEvPfPK15HIP_vector_typeIfLj2EEiiiiiiS1_IjLj3EES5_S5_
                                        ; -- End function
	.set _ZL33flash_attn_stream_k_fixup_uniformILi256ELi1ELi32EEvPfPK15HIP_vector_typeIfLj2EEiiiiiiS1_IjLj3EES5_S5_.num_vgpr, 15
	.set _ZL33flash_attn_stream_k_fixup_uniformILi256ELi1ELi32EEvPfPK15HIP_vector_typeIfLj2EEiiiiiiS1_IjLj3EES5_S5_.num_agpr, 0
	.set _ZL33flash_attn_stream_k_fixup_uniformILi256ELi1ELi32EEvPfPK15HIP_vector_typeIfLj2EEiiiiiiS1_IjLj3EES5_S5_.numbered_sgpr, 20
	.set _ZL33flash_attn_stream_k_fixup_uniformILi256ELi1ELi32EEvPfPK15HIP_vector_typeIfLj2EEiiiiiiS1_IjLj3EES5_S5_.num_named_barrier, 0
	.set _ZL33flash_attn_stream_k_fixup_uniformILi256ELi1ELi32EEvPfPK15HIP_vector_typeIfLj2EEiiiiiiS1_IjLj3EES5_S5_.private_seg_size, 0
	.set _ZL33flash_attn_stream_k_fixup_uniformILi256ELi1ELi32EEvPfPK15HIP_vector_typeIfLj2EEiiiiiiS1_IjLj3EES5_S5_.uses_vcc, 1
	.set _ZL33flash_attn_stream_k_fixup_uniformILi256ELi1ELi32EEvPfPK15HIP_vector_typeIfLj2EEiiiiiiS1_IjLj3EES5_S5_.uses_flat_scratch, 0
	.set _ZL33flash_attn_stream_k_fixup_uniformILi256ELi1ELi32EEvPfPK15HIP_vector_typeIfLj2EEiiiiiiS1_IjLj3EES5_S5_.has_dyn_sized_stack, 0
	.set _ZL33flash_attn_stream_k_fixup_uniformILi256ELi1ELi32EEvPfPK15HIP_vector_typeIfLj2EEiiiiiiS1_IjLj3EES5_S5_.has_recursion, 0
	.set _ZL33flash_attn_stream_k_fixup_uniformILi256ELi1ELi32EEvPfPK15HIP_vector_typeIfLj2EEiiiiiiS1_IjLj3EES5_S5_.has_indirect_call, 0
	.section	.AMDGPU.csdata,"",@progbits
; Kernel info:
; codeLenInByte = 824
; TotalNumSgprs: 22
; NumVgprs: 15
; ScratchSize: 0
; MemoryBound: 0
; FloatMode: 240
; IeeeMode: 1
; LDSByteSize: 0 bytes/workgroup (compile time only)
; SGPRBlocks: 0
; VGPRBlocks: 1
; NumSGPRsForWavesPerEU: 22
; NumVGPRsForWavesPerEU: 15
; Occupancy: 16
; WaveLimiterHint : 0
; COMPUTE_PGM_RSRC2:SCRATCH_EN: 0
; COMPUTE_PGM_RSRC2:USER_SGPR: 6
; COMPUTE_PGM_RSRC2:TRAP_HANDLER: 0
; COMPUTE_PGM_RSRC2:TGID_X_EN: 1
; COMPUTE_PGM_RSRC2:TGID_Y_EN: 1
; COMPUTE_PGM_RSRC2:TGID_Z_EN: 1
; COMPUTE_PGM_RSRC2:TIDIG_COMP_CNT: 0
	.section	.text._ZL33flash_attn_stream_k_fixup_generalILi256ELi1ELi32EEvPfPK15HIP_vector_typeIfLj2EEiiiiS1_IjLj3EES5_S5_S5_,"axG",@progbits,_ZL33flash_attn_stream_k_fixup_generalILi256ELi1ELi32EEvPfPK15HIP_vector_typeIfLj2EEiiiiS1_IjLj3EES5_S5_S5_,comdat
	.globl	_ZL33flash_attn_stream_k_fixup_generalILi256ELi1ELi32EEvPfPK15HIP_vector_typeIfLj2EEiiiiS1_IjLj3EES5_S5_S5_ ; -- Begin function _ZL33flash_attn_stream_k_fixup_generalILi256ELi1ELi32EEvPfPK15HIP_vector_typeIfLj2EEiiiiS1_IjLj3EES5_S5_S5_
	.p2align	8
	.type	_ZL33flash_attn_stream_k_fixup_generalILi256ELi1ELi32EEvPfPK15HIP_vector_typeIfLj2EEiiiiS1_IjLj3EES5_S5_S5_,@function
_ZL33flash_attn_stream_k_fixup_generalILi256ELi1ELi32EEvPfPK15HIP_vector_typeIfLj2EEiiiiS1_IjLj3EES5_S5_S5_: ; @_ZL33flash_attn_stream_k_fixup_generalILi256ELi1ELi32EEvPfPK15HIP_vector_typeIfLj2EEiiiiS1_IjLj3EES5_S5_S5_
; %bb.0:
	s_clause 0x1
	s_load_dwordx4 s[0:3], s[4:5], 0x10
	s_load_dword s9, s[4:5], 0x50
	s_mov_b32 s16, 0
	s_waitcnt lgkmcnt(0)
	s_mul_hi_i32 s17, s3, s6
	s_mul_i32 s18, s3, s6
	s_cmp_lg_u64 s[16:17], 0
	s_cbranch_scc0 .LBB3_21
; %bb.1:
	s_add_u32 s10, s9, 0
	s_addc_u32 s11, 0, 0
	s_xor_b64 s[10:11], s[10:11], 0
	v_cvt_f32_u32_e32 v1, s10
	v_cvt_f32_u32_e32 v2, s11
	s_sub_u32 s14, 0, s10
	s_subb_u32 s15, 0, s11
	v_fmamk_f32 v1, v2, 0x4f800000, v1
	v_rcp_f32_e32 v1, v1
	v_mul_f32_e32 v1, 0x5f7ffffc, v1
	v_mul_f32_e32 v2, 0x2f800000, v1
	v_trunc_f32_e32 v2, v2
	v_fmamk_f32 v1, v2, 0xcf800000, v1
	v_cvt_u32_f32_e32 v2, v2
	v_cvt_u32_f32_e32 v1, v1
	v_readfirstlane_b32 s12, v2
	v_readfirstlane_b32 s13, v1
	s_mul_i32 s19, s14, s12
	s_mul_hi_u32 s21, s14, s13
	s_mul_i32 s20, s15, s13
	s_add_i32 s19, s21, s19
	s_mul_i32 s22, s14, s13
	s_add_i32 s19, s19, s20
	s_mul_hi_u32 s21, s13, s22
	s_mul_i32 s24, s13, s19
	s_mul_hi_u32 s23, s12, s22
	s_mul_i32 s20, s12, s22
	s_mul_hi_u32 s22, s13, s19
	s_add_u32 s21, s21, s24
	s_addc_u32 s22, 0, s22
	s_mul_hi_u32 s25, s12, s19
	s_add_u32 s20, s21, s20
	s_mul_i32 s19, s12, s19
	s_addc_u32 s20, s22, s23
	s_addc_u32 s21, s25, 0
	s_add_u32 s19, s20, s19
	s_addc_u32 s20, 0, s21
	s_add_u32 s13, s13, s19
	s_cselect_b32 s19, -1, 0
	s_mul_hi_u32 s21, s14, s13
	s_cmp_lg_u32 s19, 0
	s_mul_i32 s19, s14, s13
	s_addc_u32 s12, s12, s20
	s_mul_i32 s15, s15, s13
	s_mul_i32 s14, s14, s12
	s_mul_hi_u32 s20, s13, s19
	s_add_i32 s14, s21, s14
	s_mul_hi_u32 s21, s12, s19
	s_add_i32 s14, s14, s15
	s_mul_i32 s15, s12, s19
	s_mul_i32 s23, s13, s14
	s_mul_hi_u32 s22, s13, s14
	s_add_u32 s20, s20, s23
	s_addc_u32 s22, 0, s22
	s_mul_hi_u32 s19, s12, s14
	s_add_u32 s15, s20, s15
	s_mul_i32 s14, s12, s14
	s_addc_u32 s15, s22, s21
	s_addc_u32 s19, s19, 0
	s_add_u32 s14, s15, s14
	s_addc_u32 s15, 0, s19
	s_add_u32 s19, s13, s14
	s_cselect_b32 s13, -1, 0
	s_cmp_lg_u32 s13, 0
	s_addc_u32 s20, s12, s15
	s_ashr_i32 s12, s17, 31
	s_add_u32 s14, s18, s12
	s_mov_b32 s13, s12
	s_addc_u32 s15, s17, s12
	s_xor_b64 s[14:15], s[14:15], s[12:13]
	s_mul_i32 s21, s14, s20
	s_mul_hi_u32 s22, s14, s19
	s_mul_hi_u32 s17, s14, s20
	;; [unrolled: 1-line block ×3, first 2 shown]
	s_mul_i32 s19, s15, s19
	s_add_u32 s21, s22, s21
	s_addc_u32 s17, 0, s17
	s_mul_hi_u32 s23, s15, s20
	s_add_u32 s19, s21, s19
	s_mul_i32 s20, s15, s20
	s_addc_u32 s17, s17, s24
	s_addc_u32 s19, s23, 0
	s_add_u32 s17, s17, s20
	s_addc_u32 s19, 0, s19
	s_mul_hi_u32 s20, s10, s17
	s_mul_i32 s21, s10, s19
	s_mul_i32 s22, s11, s17
	s_add_i32 s20, s20, s21
	s_mul_i32 s21, s10, s17
	s_add_i32 s20, s20, s22
	s_sub_i32 s22, s15, s20
	s_sub_u32 s14, s14, s21
	s_cselect_b32 s21, -1, 0
	s_cmp_lg_u32 s21, 0
	s_subb_u32 s22, s22, s11
	s_sub_u32 s23, s14, s10
	s_cselect_b32 s24, -1, 0
	s_cmp_lg_u32 s24, 0
	s_subb_u32 s22, s22, 0
	s_cmp_ge_u32 s22, s11
	s_cselect_b32 s24, -1, 0
	s_cmp_ge_u32 s23, s10
	s_cselect_b32 s23, -1, 0
	s_cmp_eq_u32 s22, s11
	s_cselect_b32 s22, s23, s24
	s_add_u32 s23, s17, 1
	s_addc_u32 s24, s19, 0
	s_add_u32 s25, s17, 2
	s_addc_u32 s26, s19, 0
	s_cmp_lg_u32 s22, 0
	s_cselect_b32 s22, s25, s23
	s_cselect_b32 s23, s26, s24
	s_cmp_lg_u32 s21, 0
	s_subb_u32 s15, s15, s20
	s_cmp_ge_u32 s15, s11
	s_cselect_b32 s20, -1, 0
	s_cmp_ge_u32 s14, s10
	s_cselect_b32 s10, -1, 0
	s_cmp_eq_u32 s15, s11
	s_cselect_b32 s10, s10, s20
	s_cmp_lg_u32 s10, 0
	s_cselect_b32 s11, s23, s19
	s_cselect_b32 s10, s22, s17
	s_xor_b64 s[12:13], s[12:13], 0
	s_xor_b64 s[10:11], s[10:11], s[12:13]
	s_sub_u32 s10, s10, s12
	s_load_dwordx4 s[12:15], s[4:5], 0x44
	s_andn2_b32 vcc_lo, exec_lo, s16
	s_cbranch_vccnz .LBB3_3
.LBB3_2:
	v_cvt_f32_u32_e32 v1, s9
	s_sub_i32 s11, 0, s9
	v_rcp_iflag_f32_e32 v1, v1
	v_mul_f32_e32 v1, 0x4f7ffffe, v1
	v_cvt_u32_f32_e32 v1, v1
	v_readfirstlane_b32 s10, v1
	s_mul_i32 s11, s11, s10
	s_mul_hi_u32 s11, s10, s11
	s_add_i32 s10, s10, s11
	s_mul_hi_u32 s10, s18, s10
	s_mul_i32 s11, s10, s9
	s_waitcnt lgkmcnt(0)
	s_add_i32 s15, s10, 1
	s_sub_i32 s11, s18, s11
	s_sub_i32 s16, s11, s9
	s_cmp_ge_u32 s11, s9
	s_cselect_b32 s10, s15, s10
	s_cselect_b32 s11, s16, s11
	s_add_i32 s15, s10, 1
	s_cmp_ge_u32 s11, s9
	s_cselect_b32 s10, s15, s10
.LBB3_3:
	s_add_i32 s11, s6, 1
	s_mov_b32 s16, 0
	s_mul_hi_i32 s17, s3, s11
	s_mul_i32 s11, s3, s11
	s_cmp_lg_u64 s[16:17], 0
	s_cbranch_scc0 .LBB3_22
; %bb.4:
	s_add_u32 s18, s9, 0
	s_addc_u32 s19, 0, 0
	s_xor_b64 s[18:19], s[18:19], 0
	v_cvt_f32_u32_e32 v1, s18
	v_cvt_f32_u32_e32 v2, s19
	s_sub_u32 s21, 0, s18
	s_subb_u32 s22, 0, s19
	v_fmamk_f32 v1, v2, 0x4f800000, v1
	v_rcp_f32_e32 v1, v1
	v_mul_f32_e32 v1, 0x5f7ffffc, v1
	v_mul_f32_e32 v2, 0x2f800000, v1
	v_trunc_f32_e32 v2, v2
	v_fmamk_f32 v1, v2, 0xcf800000, v1
	v_cvt_u32_f32_e32 v2, v2
	v_cvt_u32_f32_e32 v1, v1
	s_waitcnt lgkmcnt(0)
	v_readfirstlane_b32 s15, v2
	v_readfirstlane_b32 s20, v1
	s_mul_i32 s23, s21, s15
	s_mul_hi_u32 s25, s21, s20
	s_mul_i32 s24, s22, s20
	s_add_i32 s23, s25, s23
	s_mul_i32 s26, s21, s20
	s_add_i32 s23, s23, s24
	s_mul_hi_u32 s25, s20, s26
	s_mul_i32 s28, s20, s23
	s_mul_hi_u32 s27, s15, s26
	s_mul_i32 s24, s15, s26
	s_mul_hi_u32 s26, s20, s23
	s_add_u32 s25, s25, s28
	s_addc_u32 s26, 0, s26
	s_mul_hi_u32 s29, s15, s23
	s_add_u32 s24, s25, s24
	s_mul_i32 s23, s15, s23
	s_addc_u32 s24, s26, s27
	s_addc_u32 s25, s29, 0
	s_add_u32 s23, s24, s23
	s_addc_u32 s24, 0, s25
	s_add_u32 s20, s20, s23
	s_cselect_b32 s23, -1, 0
	s_mul_hi_u32 s25, s21, s20
	s_cmp_lg_u32 s23, 0
	s_mul_i32 s23, s21, s20
	s_addc_u32 s15, s15, s24
	s_mul_i32 s22, s22, s20
	s_mul_i32 s21, s21, s15
	s_mul_hi_u32 s24, s20, s23
	s_add_i32 s21, s25, s21
	s_mul_hi_u32 s25, s15, s23
	s_add_i32 s21, s21, s22
	s_mul_i32 s22, s15, s23
	s_mul_i32 s27, s20, s21
	s_mul_hi_u32 s26, s20, s21
	s_add_u32 s24, s24, s27
	s_addc_u32 s26, 0, s26
	s_mul_hi_u32 s23, s15, s21
	s_add_u32 s22, s24, s22
	s_mul_i32 s21, s15, s21
	s_addc_u32 s22, s26, s25
	s_addc_u32 s23, s23, 0
	s_add_u32 s21, s22, s21
	s_addc_u32 s22, 0, s23
	s_add_u32 s24, s20, s21
	s_cselect_b32 s20, -1, 0
	s_cmp_lg_u32 s20, 0
	s_addc_u32 s15, s15, s22
	s_ashr_i32 s20, s17, 31
	s_add_u32 s22, s11, s20
	s_mov_b32 s21, s20
	s_addc_u32 s23, s17, s20
	s_xor_b64 s[22:23], s[22:23], s[20:21]
	s_mul_i32 s25, s22, s15
	s_mul_hi_u32 s26, s22, s24
	s_mul_hi_u32 s17, s22, s15
	;; [unrolled: 1-line block ×3, first 2 shown]
	s_mul_i32 s24, s23, s24
	s_add_u32 s25, s26, s25
	s_addc_u32 s17, 0, s17
	s_mul_hi_u32 s27, s23, s15
	s_add_u32 s24, s25, s24
	s_mul_i32 s15, s23, s15
	s_addc_u32 s17, s17, s28
	s_addc_u32 s24, s27, 0
	s_add_u32 s15, s17, s15
	s_addc_u32 s17, 0, s24
	s_mul_hi_u32 s24, s18, s15
	s_mul_i32 s25, s18, s17
	s_mul_i32 s26, s19, s15
	s_add_i32 s24, s24, s25
	s_mul_i32 s25, s18, s15
	s_add_i32 s24, s24, s26
	s_sub_i32 s26, s23, s24
	s_sub_u32 s22, s22, s25
	s_cselect_b32 s25, -1, 0
	s_cmp_lg_u32 s25, 0
	s_subb_u32 s26, s26, s19
	s_sub_u32 s27, s22, s18
	s_cselect_b32 s28, -1, 0
	s_cmp_lg_u32 s28, 0
	s_subb_u32 s26, s26, 0
	s_cmp_ge_u32 s26, s19
	s_cselect_b32 s28, -1, 0
	s_cmp_ge_u32 s27, s18
	s_cselect_b32 s27, -1, 0
	s_cmp_eq_u32 s26, s19
	s_cselect_b32 s26, s27, s28
	s_add_u32 s27, s15, 1
	s_addc_u32 s28, s17, 0
	s_add_u32 s29, s15, 2
	s_addc_u32 s30, s17, 0
	s_cmp_lg_u32 s26, 0
	s_cselect_b32 s26, s29, s27
	s_cselect_b32 s27, s30, s28
	s_cmp_lg_u32 s25, 0
	s_subb_u32 s23, s23, s24
	s_cmp_ge_u32 s23, s19
	s_cselect_b32 s24, -1, 0
	s_cmp_ge_u32 s22, s18
	s_cselect_b32 s18, -1, 0
	s_cmp_eq_u32 s23, s19
	s_cselect_b32 s18, s18, s24
	s_cmp_lg_u32 s18, 0
	s_cselect_b32 s19, s27, s17
	s_cselect_b32 s18, s26, s15
	s_xor_b64 s[20:21], s[20:21], 0
	s_xor_b64 s[18:19], s[18:19], s[20:21]
	s_sub_u32 s18, s18, s20
	s_andn2_b32 vcc_lo, exec_lo, s16
	s_cbranch_vccnz .LBB3_6
.LBB3_5:
	v_cvt_f32_u32_e32 v1, s9
	s_sub_i32 s16, 0, s9
	v_rcp_iflag_f32_e32 v1, v1
	v_mul_f32_e32 v1, 0x4f7ffffe, v1
	v_cvt_u32_f32_e32 v1, v1
	s_waitcnt lgkmcnt(0)
	v_readfirstlane_b32 s15, v1
	s_mul_i32 s16, s16, s15
	s_mul_hi_u32 s16, s15, s16
	s_add_i32 s15, s15, s16
	s_mul_hi_u32 s15, s11, s15
	s_mul_i32 s16, s15, s9
	s_sub_i32 s11, s11, s16
	s_add_i32 s16, s15, 1
	s_sub_i32 s17, s11, s9
	s_cmp_ge_u32 s11, s9
	s_cselect_b32 s15, s16, s15
	s_cselect_b32 s11, s17, s11
	s_add_i32 s16, s15, 1
	s_cmp_ge_u32 s11, s9
	s_cselect_b32 s18, s16, s15
.LBB3_6:
	s_cmp_eq_u32 s10, s18
	s_waitcnt lgkmcnt(0)
	s_mul_hi_u32 s11, s10, s12
	s_cselect_b32 s15, -1, 0
	s_add_i32 s11, s11, s10
	s_lshr_b32 s11, s11, s13
	s_mul_i32 s16, s11, s14
	s_cmp_eq_u32 s16, s10
	s_mul_hi_u32 s16, s18, s12
	s_cselect_b32 s17, -1, 0
	s_add_i32 s16, s16, s18
	s_lshr_b32 s16, s16, s13
	s_cmp_eq_u32 s11, s16
	s_mul_i32 s16, s16, s14
	s_cselect_b32 s19, -1, 0
	s_cmp_lg_u32 s16, s18
	s_cselect_b32 s16, -1, 0
	s_or_b32 s15, s15, s17
	s_and_b32 s16, s19, s16
	s_or_b32 s15, s15, s16
	s_and_b32 vcc_lo, exec_lo, s15
	s_cbranch_vccnz .LBB3_24
; %bb.7:
	s_load_dwordx8 s[16:23], s[4:5], 0x20
	s_waitcnt lgkmcnt(0)
	s_mul_hi_u32 s15, s10, s16
	s_load_dword s16, s[4:5], 0x40
	s_add_i32 s15, s15, s10
	s_lshr_b32 s15, s15, s17
	s_mul_i32 s17, s15, s18
	s_sub_i32 s17, s10, s17
	s_mul_hi_u32 s18, s17, s19
	s_add_i32 s18, s17, s18
	s_lshr_b32 s20, s18, s20
	s_mul_i32 s18, s20, s21
	s_sub_i32 s17, s17, s18
	s_mul_hi_u32 s18, s17, s22
	s_add_i32 s18, s17, s18
	s_lshr_b32 s18, s18, s23
	s_waitcnt lgkmcnt(0)
	s_mul_i32 s16, s18, s16
	s_lshl_b32 s22, s18, 5
	s_sub_i32 s16, s17, s16
	s_mul_hi_u32 s17, s16, s12
	s_add_i32 s16, s16, s17
	s_lshr_b32 s21, s16, s13
	s_add_i32 s21, s21, s7
	s_cmp_lt_i32 s21, s0
	s_cselect_b32 s16, -1, 0
	s_add_i32 s22, s22, s8
	s_cmp_lt_i32 s22, s2
	s_cselect_b32 s17, -1, 0
	s_and_b32 s16, s16, s17
	s_andn2_b32 vcc_lo, exec_lo, s16
	s_cbranch_vccnz .LBB3_24
; %bb.8:
	s_load_dwordx4 s[16:19], s[4:5], 0x0
	s_mov_b32 s4, 0
	s_lshl_b32 s24, s9, 7
	s_mov_b32 s25, s4
	s_mul_i32 s0, s15, s0
	s_lshl_b64 s[24:25], s[24:25], 2
	s_mul_i32 s20, s20, s2
	v_cvt_f32_u32_e32 v4, s9
	v_rcp_iflag_f32_e32 v4, v4
	s_waitcnt lgkmcnt(0)
	s_add_u32 s2, s18, s24
	s_addc_u32 s15, s19, s25
	s_add_i32 s0, s21, s0
	s_add_i32 s5, s22, s20
	s_mul_i32 s0, s0, s1
	v_mul_f32_e32 v4, 0x4f7ffffe, v4
	s_add_i32 s5, s5, s0
	s_add_i32 s0, s7, s6
	v_lshl_or_b32 v1, s5, 8, v0
	s_lshl_b32 s0, s0, 5
	v_lshl_or_b32 v0, s8, 8, v0
	s_add_i32 s0, s0, s8
	v_cvt_u32_f32_e32 v4, v4
	v_ashrrev_i32_e32 v2, 31, v1
	s_ashr_i32 s1, s0, 31
	s_lshl_b64 s[0:1], s[0:1], 3
	v_lshlrev_b64 v[1:2], 2, v[1:2]
	s_add_u32 s0, s18, s0
	s_addc_u32 s1, s19, s1
	s_add_i32 s20, s6, -1
	s_load_dwordx2 s[0:1], s[0:1], 0x0
	s_sub_i32 s6, 0, s9
	v_add_co_u32 v1, vcc_lo, s16, v1
	v_add_co_ci_u32_e64 v2, null, s17, v2, vcc_lo
	global_load_dword v3, v[1:2], off
	s_waitcnt lgkmcnt(0)
	v_mov_b32_e32 v5, s1
	v_mov_b32_e32 v6, s0
.LBB3_9:                                ; =>This Inner Loop Header: Depth=1
	s_mul_hi_i32 s5, s20, s3
	s_mul_i32 s16, s20, s3
	s_cmp_lg_u64 s[4:5], 0
	s_mov_b32 s17, -1
                                        ; implicit-def: $sgpr0_sgpr1
	s_cbranch_scc0 .LBB3_11
; %bb.10:                               ;   in Loop: Header=BB3_9 Depth=1
	s_add_u32 s0, s9, 0
	s_addc_u32 s1, 0, 0
	s_xor_b64 s[0:1], s[0:1], 0
	v_cvt_f32_u32_e32 v7, s0
	v_cvt_f32_u32_e32 v8, s1
	s_sub_u32 s22, 0, s0
	s_subb_u32 s23, 0, s1
	v_fmac_f32_e32 v7, 0x4f800000, v8
	v_rcp_f32_e32 v7, v7
	v_mul_f32_e32 v7, 0x5f7ffffc, v7
	v_mul_f32_e32 v8, 0x2f800000, v7
	v_trunc_f32_e32 v8, v8
	v_fmac_f32_e32 v7, 0xcf800000, v8
	v_cvt_u32_f32_e32 v8, v8
	v_cvt_u32_f32_e32 v7, v7
	v_readfirstlane_b32 s17, v8
	v_readfirstlane_b32 s21, v7
	s_mul_i32 s24, s22, s17
	s_mul_hi_u32 s26, s22, s21
	s_mul_i32 s25, s23, s21
	s_add_i32 s24, s26, s24
	s_mul_i32 s27, s22, s21
	s_add_i32 s24, s24, s25
	s_mul_hi_u32 s26, s21, s27
	s_mul_i32 s29, s21, s24
	s_mul_hi_u32 s28, s17, s27
	s_mul_i32 s25, s17, s27
	s_mul_hi_u32 s27, s21, s24
	s_add_u32 s26, s26, s29
	s_addc_u32 s27, 0, s27
	s_mul_hi_u32 s30, s17, s24
	s_add_u32 s25, s26, s25
	s_mul_i32 s24, s17, s24
	s_addc_u32 s25, s27, s28
	s_addc_u32 s26, s30, 0
	s_add_u32 s24, s25, s24
	s_addc_u32 s25, 0, s26
	s_add_u32 s21, s21, s24
	s_cselect_b32 s24, -1, 0
	s_mul_hi_u32 s26, s22, s21
	s_cmp_lg_u32 s24, 0
	s_mul_i32 s24, s22, s21
	s_addc_u32 s17, s17, s25
	s_mul_i32 s23, s23, s21
	s_mul_i32 s22, s22, s17
	s_mul_hi_u32 s25, s21, s24
	s_add_i32 s22, s26, s22
	s_mul_hi_u32 s26, s17, s24
	s_add_i32 s22, s22, s23
	s_mul_i32 s23, s17, s24
	s_mul_i32 s28, s21, s22
	s_mul_hi_u32 s27, s21, s22
	s_add_u32 s25, s25, s28
	s_addc_u32 s27, 0, s27
	s_mul_hi_u32 s24, s17, s22
	s_add_u32 s23, s25, s23
	s_mul_i32 s22, s17, s22
	s_addc_u32 s23, s27, s26
	s_addc_u32 s24, s24, 0
	s_add_u32 s22, s23, s22
	s_addc_u32 s23, 0, s24
	s_add_u32 s21, s21, s22
	s_cselect_b32 s22, -1, 0
	s_cmp_lg_u32 s22, 0
	s_addc_u32 s17, s17, s23
	s_ashr_i32 s22, s5, 31
	s_add_u32 s24, s16, s22
	s_mov_b32 s23, s22
	s_addc_u32 s25, s5, s22
	s_xor_b64 s[24:25], s[24:25], s[22:23]
	s_mul_i32 s26, s24, s17
	s_mul_hi_u32 s27, s24, s21
	s_mul_hi_u32 s5, s24, s17
	;; [unrolled: 1-line block ×3, first 2 shown]
	s_mul_i32 s21, s25, s21
	s_add_u32 s26, s27, s26
	s_addc_u32 s5, 0, s5
	s_mul_hi_u32 s28, s25, s17
	s_add_u32 s21, s26, s21
	s_mul_i32 s17, s25, s17
	s_addc_u32 s5, s5, s29
	s_addc_u32 s21, s28, 0
	s_add_u32 s5, s5, s17
	s_addc_u32 s17, 0, s21
	s_mul_hi_u32 s21, s0, s5
	s_mul_i32 s26, s0, s17
	s_mul_i32 s27, s1, s5
	s_add_i32 s21, s21, s26
	s_mul_i32 s26, s0, s5
	s_add_i32 s21, s21, s27
	s_sub_i32 s27, s25, s21
	s_sub_u32 s24, s24, s26
	s_cselect_b32 s26, -1, 0
	s_cmp_lg_u32 s26, 0
	s_subb_u32 s27, s27, s1
	s_sub_u32 s28, s24, s0
	s_cselect_b32 s29, -1, 0
	s_cmp_lg_u32 s29, 0
	s_subb_u32 s27, s27, 0
	s_cmp_ge_u32 s27, s1
	s_cselect_b32 s29, -1, 0
	s_cmp_ge_u32 s28, s0
	s_cselect_b32 s28, -1, 0
	s_cmp_eq_u32 s27, s1
	s_cselect_b32 s27, s28, s29
	s_add_u32 s28, s5, 1
	s_addc_u32 s29, s17, 0
	s_add_u32 s30, s5, 2
	s_addc_u32 s31, s17, 0
	s_cmp_lg_u32 s27, 0
	s_cselect_b32 s27, s30, s28
	s_cselect_b32 s28, s31, s29
	s_cmp_lg_u32 s26, 0
	s_subb_u32 s21, s25, s21
	s_cmp_ge_u32 s21, s1
	s_cselect_b32 s25, -1, 0
	s_cmp_ge_u32 s24, s0
	s_cselect_b32 s0, -1, 0
	s_cmp_eq_u32 s21, s1
	s_cselect_b32 s0, s0, s25
	s_cmp_lg_u32 s0, 0
	s_cselect_b32 s1, s28, s17
	s_cselect_b32 s0, s27, s5
	s_xor_b64 s[22:23], s[22:23], 0
	s_mov_b32 s17, 0
	s_xor_b64 s[0:1], s[0:1], s[22:23]
	s_sub_u32 s0, s0, s22
.LBB3_11:                               ;   in Loop: Header=BB3_9 Depth=1
	s_andn2_b32 vcc_lo, exec_lo, s17
	s_cbranch_vccnz .LBB3_13
; %bb.12:                               ;   in Loop: Header=BB3_9 Depth=1
	v_readfirstlane_b32 s0, v4
	s_mul_i32 s1, s6, s0
	s_mul_hi_u32 s1, s0, s1
	s_add_i32 s0, s0, s1
	s_mul_hi_u32 s0, s16, s0
	s_mul_i32 s1, s0, s9
	s_add_i32 s5, s0, 1
	s_sub_i32 s1, s16, s1
	s_sub_i32 s16, s1, s9
	s_cmp_ge_u32 s1, s9
	s_cselect_b32 s0, s5, s0
	s_cselect_b32 s1, s16, s1
	s_add_i32 s5, s0, 1
	s_cmp_ge_u32 s1, s9
	s_cselect_b32 s0, s5, s0
.LBB3_13:                               ;   in Loop: Header=BB3_9 Depth=1
	s_cmp_lg_u32 s10, s0
	s_mov_b32 s16, -1
                                        ; implicit-def: $sgpr5
                                        ; implicit-def: $vgpr8
                                        ; implicit-def: $vgpr7
                                        ; implicit-def: $vgpr9
                                        ; implicit-def: $sgpr1
                                        ; implicit-def: $sgpr21
	s_cbranch_scc0 .LBB3_18
; %bb.14:                               ;   in Loop: Header=BB3_9 Depth=1
	s_add_i32 s22, s20, s7
	s_mov_b32 s17, s4
	s_add_i32 s1, s22, s9
	s_mov_b32 s21, s10
	s_lshl_b32 s1, s1, 5
	s_add_i32 s16, s1, s8
	s_mul_hi_u32 s1, s0, s12
	s_lshl_b64 s[16:17], s[16:17], 3
	s_add_u32 s16, s18, s16
	s_addc_u32 s17, s19, s17
	s_add_i32 s1, s1, s0
	s_lshr_b32 s1, s1, s13
	s_mul_i32 s5, s1, s14
	s_cmp_eq_u32 s5, s0
	s_cselect_b32 s5, -1, 0
	s_cmp_lt_u32 s1, s11
	s_cselect_b32 s1, -1, 0
	s_or_b32 s1, s1, s5
	s_mov_b32 s5, -1
	s_and_b32 vcc_lo, exec_lo, s1
	s_mov_b32 s1, s20
	s_cbranch_vccnz .LBB3_16
; %bb.15:                               ;   in Loop: Header=BB3_9 Depth=1
	s_add_i32 s1, s20, -1
	s_mov_b32 s5, 0
	s_mov_b32 s21, s0
.LBB3_16:                               ;   in Loop: Header=BB3_9 Depth=1
	v_lshl_add_u32 v7, s22, 13, v0
	s_load_dwordx2 s[16:17], s[16:17], 0x0
	v_ashrrev_i32_e32 v8, 31, v7
	v_lshlrev_b64 v[7:8], 2, v[7:8]
	v_add_co_u32 v7, vcc_lo, s2, v7
	v_add_co_ci_u32_e64 v8, null, s15, v8, vcc_lo
	s_waitcnt lgkmcnt(0)
	v_max_f32_e64 v9, s16, s16
	global_load_dword v8, v[7:8], off
	v_max_f32_e32 v7, v6, v6
	v_max_f32_e32 v7, v7, v9
	v_sub_f32_e32 v9, s16, v7
	v_sub_f32_e32 v10, v6, v7
	v_mul_f32_e32 v11, 0x3fb8aa3b, v9
	v_mul_f32_e32 v12, 0x3fb8aa3b, v10
	v_cmp_ngt_f32_e32 vcc_lo, 0xc2ce8ed0, v9
	v_fma_f32 v13, 0x3fb8aa3b, v9, -v11
	v_rndne_f32_e32 v14, v11
	v_fma_f32 v15, 0x3fb8aa3b, v10, -v12
	v_rndne_f32_e32 v16, v12
	v_fmac_f32_e32 v13, 0x32a5705f, v9
	v_sub_f32_e32 v11, v11, v14
	v_fmac_f32_e32 v15, 0x32a5705f, v10
	v_sub_f32_e32 v12, v12, v16
	v_add_f32_e32 v11, v11, v13
	v_cvt_i32_f32_e32 v13, v14
	v_add_f32_e32 v12, v12, v15
	v_cvt_i32_f32_e32 v14, v16
	v_exp_f32_e32 v11, v11
	v_exp_f32_e32 v12, v12
	v_ldexp_f32 v11, v11, v13
	v_ldexp_f32 v12, v12, v14
	v_cndmask_b32_e32 v11, 0, v11, vcc_lo
	v_cmp_ngt_f32_e32 vcc_lo, 0xc2ce8ed0, v10
	v_cndmask_b32_e32 v12, 0, v12, vcc_lo
	v_cmp_nlt_f32_e32 vcc_lo, 0x42b17218, v9
	v_cndmask_b32_e32 v11, 0x7f800000, v11, vcc_lo
	v_cmp_nlt_f32_e32 vcc_lo, 0x42b17218, v10
	v_cndmask_b32_e32 v12, 0x7f800000, v12, vcc_lo
	v_cmp_le_f32_e32 vcc_lo, 0xc1a00000, v9
	v_cndmask_b32_e32 v9, 0, v11, vcc_lo
	v_cmp_le_f32_e32 vcc_lo, 0xc1a00000, v10
	v_cndmask_b32_e32 v10, 0, v12, vcc_lo
	s_waitcnt vmcnt(0)
	v_mul_f32_e32 v8, v8, v9
	v_mul_f32_e32 v9, s17, v9
	v_fmac_f32_e32 v8, v3, v10
	v_fmac_f32_e32 v9, v5, v10
	s_cbranch_execz .LBB3_19
.LBB3_17:                               ;   in Loop: Header=BB3_9 Depth=1
	s_andn2_b32 vcc_lo, exec_lo, s5
	s_cbranch_vccnz .LBB3_20
	s_branch .LBB3_23
.LBB3_18:                               ;   in Loop: Header=BB3_9 Depth=1
	s_andn2_b32 vcc_lo, exec_lo, s16
	s_cbranch_vccnz .LBB3_17
.LBB3_19:                               ;   in Loop: Header=BB3_9 Depth=1
	v_mov_b32_e32 v9, v5
	v_mov_b32_e32 v7, v6
	s_waitcnt vmcnt(0)
	v_mov_b32_e32 v8, v3
	s_add_i32 s1, s20, -1
	s_mov_b32 s21, s10
	s_cbranch_execz .LBB3_23
.LBB3_20:                               ;   in Loop: Header=BB3_9 Depth=1
	v_mov_b32_e32 v5, v9
	v_mov_b32_e32 v6, v7
	s_waitcnt vmcnt(0)
	v_mov_b32_e32 v3, v8
	s_mov_b32 s10, s21
	s_mov_b32 s20, s1
	s_branch .LBB3_9
.LBB3_21:
                                        ; implicit-def: $sgpr10_sgpr11
	s_load_dwordx4 s[12:15], s[4:5], 0x44
	s_branch .LBB3_2
.LBB3_22:
                                        ; implicit-def: $sgpr18_sgpr19
	s_branch .LBB3_5
.LBB3_23:
	v_div_scale_f32 v0, null, v9, v9, v8
	s_waitcnt vmcnt(0)
	v_rcp_f32_e32 v3, v0
	v_fma_f32 v4, -v0, v3, 1.0
	v_fmac_f32_e32 v3, v4, v3
	v_div_scale_f32 v4, vcc_lo, v8, v9, v8
	v_mul_f32_e32 v5, v4, v3
	v_fma_f32 v6, -v0, v5, v4
	v_fmac_f32_e32 v5, v6, v3
	v_fma_f32 v0, -v0, v5, v4
	v_div_fmas_f32 v0, v0, v3, v5
	v_div_fixup_f32 v0, v0, v9, v8
	global_store_dword v[1:2], v0, off
.LBB3_24:
	s_endpgm
	.section	.rodata,"a",@progbits
	.p2align	6, 0x0
	.amdhsa_kernel _ZL33flash_attn_stream_k_fixup_generalILi256ELi1ELi32EEvPfPK15HIP_vector_typeIfLj2EEiiiiS1_IjLj3EES5_S5_S5_
		.amdhsa_group_segment_fixed_size 0
		.amdhsa_private_segment_fixed_size 0
		.amdhsa_kernarg_size 336
		.amdhsa_user_sgpr_count 6
		.amdhsa_user_sgpr_private_segment_buffer 1
		.amdhsa_user_sgpr_dispatch_ptr 0
		.amdhsa_user_sgpr_queue_ptr 0
		.amdhsa_user_sgpr_kernarg_segment_ptr 1
		.amdhsa_user_sgpr_dispatch_id 0
		.amdhsa_user_sgpr_flat_scratch_init 0
		.amdhsa_user_sgpr_private_segment_size 0
		.amdhsa_wavefront_size32 1
		.amdhsa_uses_dynamic_stack 0
		.amdhsa_system_sgpr_private_segment_wavefront_offset 0
		.amdhsa_system_sgpr_workgroup_id_x 1
		.amdhsa_system_sgpr_workgroup_id_y 1
		.amdhsa_system_sgpr_workgroup_id_z 1
		.amdhsa_system_sgpr_workgroup_info 0
		.amdhsa_system_vgpr_workitem_id 0
		.amdhsa_next_free_vgpr 17
		.amdhsa_next_free_sgpr 32
		.amdhsa_reserve_vcc 1
		.amdhsa_reserve_flat_scratch 0
		.amdhsa_float_round_mode_32 0
		.amdhsa_float_round_mode_16_64 0
		.amdhsa_float_denorm_mode_32 3
		.amdhsa_float_denorm_mode_16_64 3
		.amdhsa_dx10_clamp 1
		.amdhsa_ieee_mode 1
		.amdhsa_fp16_overflow 0
		.amdhsa_workgroup_processor_mode 1
		.amdhsa_memory_ordered 1
		.amdhsa_forward_progress 1
		.amdhsa_shared_vgpr_count 0
		.amdhsa_exception_fp_ieee_invalid_op 0
		.amdhsa_exception_fp_denorm_src 0
		.amdhsa_exception_fp_ieee_div_zero 0
		.amdhsa_exception_fp_ieee_overflow 0
		.amdhsa_exception_fp_ieee_underflow 0
		.amdhsa_exception_fp_ieee_inexact 0
		.amdhsa_exception_int_div_zero 0
	.end_amdhsa_kernel
	.section	.text._ZL33flash_attn_stream_k_fixup_generalILi256ELi1ELi32EEvPfPK15HIP_vector_typeIfLj2EEiiiiS1_IjLj3EES5_S5_S5_,"axG",@progbits,_ZL33flash_attn_stream_k_fixup_generalILi256ELi1ELi32EEvPfPK15HIP_vector_typeIfLj2EEiiiiS1_IjLj3EES5_S5_S5_,comdat
.Lfunc_end3:
	.size	_ZL33flash_attn_stream_k_fixup_generalILi256ELi1ELi32EEvPfPK15HIP_vector_typeIfLj2EEiiiiS1_IjLj3EES5_S5_S5_, .Lfunc_end3-_ZL33flash_attn_stream_k_fixup_generalILi256ELi1ELi32EEvPfPK15HIP_vector_typeIfLj2EEiiiiS1_IjLj3EES5_S5_S5_
                                        ; -- End function
	.set _ZL33flash_attn_stream_k_fixup_generalILi256ELi1ELi32EEvPfPK15HIP_vector_typeIfLj2EEiiiiS1_IjLj3EES5_S5_S5_.num_vgpr, 17
	.set _ZL33flash_attn_stream_k_fixup_generalILi256ELi1ELi32EEvPfPK15HIP_vector_typeIfLj2EEiiiiS1_IjLj3EES5_S5_S5_.num_agpr, 0
	.set _ZL33flash_attn_stream_k_fixup_generalILi256ELi1ELi32EEvPfPK15HIP_vector_typeIfLj2EEiiiiS1_IjLj3EES5_S5_S5_.numbered_sgpr, 32
	.set _ZL33flash_attn_stream_k_fixup_generalILi256ELi1ELi32EEvPfPK15HIP_vector_typeIfLj2EEiiiiS1_IjLj3EES5_S5_S5_.num_named_barrier, 0
	.set _ZL33flash_attn_stream_k_fixup_generalILi256ELi1ELi32EEvPfPK15HIP_vector_typeIfLj2EEiiiiS1_IjLj3EES5_S5_S5_.private_seg_size, 0
	.set _ZL33flash_attn_stream_k_fixup_generalILi256ELi1ELi32EEvPfPK15HIP_vector_typeIfLj2EEiiiiS1_IjLj3EES5_S5_S5_.uses_vcc, 1
	.set _ZL33flash_attn_stream_k_fixup_generalILi256ELi1ELi32EEvPfPK15HIP_vector_typeIfLj2EEiiiiS1_IjLj3EES5_S5_S5_.uses_flat_scratch, 0
	.set _ZL33flash_attn_stream_k_fixup_generalILi256ELi1ELi32EEvPfPK15HIP_vector_typeIfLj2EEiiiiS1_IjLj3EES5_S5_S5_.has_dyn_sized_stack, 0
	.set _ZL33flash_attn_stream_k_fixup_generalILi256ELi1ELi32EEvPfPK15HIP_vector_typeIfLj2EEiiiiS1_IjLj3EES5_S5_S5_.has_recursion, 0
	.set _ZL33flash_attn_stream_k_fixup_generalILi256ELi1ELi32EEvPfPK15HIP_vector_typeIfLj2EEiiiiS1_IjLj3EES5_S5_S5_.has_indirect_call, 0
	.section	.AMDGPU.csdata,"",@progbits
; Kernel info:
; codeLenInByte = 2924
; TotalNumSgprs: 34
; NumVgprs: 17
; ScratchSize: 0
; MemoryBound: 0
; FloatMode: 240
; IeeeMode: 1
; LDSByteSize: 0 bytes/workgroup (compile time only)
; SGPRBlocks: 0
; VGPRBlocks: 2
; NumSGPRsForWavesPerEU: 34
; NumVGPRsForWavesPerEU: 17
; Occupancy: 16
; WaveLimiterHint : 0
; COMPUTE_PGM_RSRC2:SCRATCH_EN: 0
; COMPUTE_PGM_RSRC2:USER_SGPR: 6
; COMPUTE_PGM_RSRC2:TRAP_HANDLER: 0
; COMPUTE_PGM_RSRC2:TGID_X_EN: 1
; COMPUTE_PGM_RSRC2:TGID_Y_EN: 1
; COMPUTE_PGM_RSRC2:TGID_Z_EN: 1
; COMPUTE_PGM_RSRC2:TIDIG_COMP_CNT: 0
	.section	.text._ZL26flash_attn_combine_resultsILi256EEvPKfPK15HIP_vector_typeIfLj2EEPfi,"axG",@progbits,_ZL26flash_attn_combine_resultsILi256EEvPKfPK15HIP_vector_typeIfLj2EEPfi,comdat
	.globl	_ZL26flash_attn_combine_resultsILi256EEvPKfPK15HIP_vector_typeIfLj2EEPfi ; -- Begin function _ZL26flash_attn_combine_resultsILi256EEvPKfPK15HIP_vector_typeIfLj2EEPfi
	.p2align	8
	.type	_ZL26flash_attn_combine_resultsILi256EEvPKfPK15HIP_vector_typeIfLj2EEPfi,@function
_ZL26flash_attn_combine_resultsILi256EEvPKfPK15HIP_vector_typeIfLj2EEPfi: ; @_ZL26flash_attn_combine_resultsILi256EEvPKfPK15HIP_vector_typeIfLj2EEPfi
; %bb.0:
	s_clause 0x3
	s_load_dwordx2 s[2:3], s[4:5], 0x20
	s_load_dword s9, s[4:5], 0x18
	s_load_dwordx4 s[12:15], s[4:5], 0x0
	s_load_dwordx2 s[10:11], s[4:5], 0x10
	v_lshlrev_b32_e32 v5, 2, v0
	s_mov_b32 s4, exec_lo
	s_waitcnt lgkmcnt(0)
	s_mul_i32 s0, s2, s8
	s_lshl_b32 s1, s9, 1
	s_add_i32 s0, s0, s6
	s_mul_i32 s6, s0, s3
	s_add_i32 s6, s6, s7
	s_mul_i32 s2, s6, s9
	v_cmpx_gt_i32_e64 s1, v0
	s_cbranch_execz .LBB4_3
; %bb.1:
	s_ashr_i32 s3, s2, 31
	v_add_nc_u32_e32 v3, 0, v5
	s_lshl_b64 s[16:17], s[2:3], 3
	v_mov_b32_e32 v4, v0
	s_add_u32 s0, s14, s16
	s_addc_u32 s3, s15, s17
	v_add_co_u32 v1, s0, s0, v5
	v_add_co_ci_u32_e64 v2, null, s3, 0, s0
	s_mov_b32 s3, 0
	.p2align	6
.LBB4_2:                                ; =>This Inner Loop Header: Depth=1
	global_load_dword v6, v[1:2], off
	v_add_nc_u32_e32 v4, 0x100, v4
	v_add_co_u32 v1, vcc_lo, 0x400, v1
	v_add_co_ci_u32_e64 v2, null, 0, v2, vcc_lo
	v_cmp_le_i32_e64 s0, s1, v4
	s_or_b32 s3, s0, s3
	s_waitcnt vmcnt(0)
	ds_write_b32 v3, v6
	v_add_nc_u32_e32 v3, 0x400, v3
	s_andn2_b32 exec_lo, exec_lo, s3
	s_cbranch_execnz .LBB4_2
.LBB4_3:
	s_or_b32 exec_lo, exec_lo, s4
	v_mov_b32_e32 v1, 0
	s_waitcnt lgkmcnt(0)
	s_barrier
	buffer_gl0_inv
	s_cmp_lt_i32 s9, 2
	ds_read_b32 v6, v1
	s_cbranch_scc1 .LBB4_11
; %bb.4:
	s_add_i32 s1, s9, -2
	s_add_i32 s0, s9, -1
	s_cmp_lt_u32 s1, 7
	s_cbranch_scc1 .LBB4_8
; %bb.5:
	s_mov_b32 s3, 0
	s_add_i32 s1, 0, 8
	s_and_b32 s4, s0, -8
	.p2align	6
.LBB4_6:                                ; =>This Inner Loop Header: Depth=1
	v_mov_b32_e32 v9, s1
	s_mov_b32 s5, s3
	s_add_i32 s3, s3, 8
	s_add_i32 s1, s1, 64
	s_cmp_eq_u32 s4, s3
	ds_read2_b32 v[1:2], v9 offset1:2
	ds_read2_b32 v[3:4], v9 offset0:4 offset1:6
	ds_read2_b32 v[7:8], v9 offset0:8 offset1:10
	;; [unrolled: 1-line block ×3, first 2 shown]
	s_waitcnt lgkmcnt(3)
	v_max3_f32 v1, v6, v1, v2
	s_waitcnt lgkmcnt(2)
	v_max3_f32 v1, v1, v3, v4
	;; [unrolled: 2-line block ×4, first 2 shown]
	s_cbranch_scc0 .LBB4_6
; %bb.7:
	s_add_i32 s1, s5, 9
	s_and_b32 s0, s0, 7
	s_cmp_eq_u32 s0, 0
	s_cbranch_scc0 .LBB4_9
	s_branch .LBB4_11
.LBB4_8:
	s_mov_b32 s1, 1
	s_and_b32 s0, s0, 7
	s_cmp_eq_u32 s0, 0
	s_cbranch_scc1 .LBB4_11
.LBB4_9:
	s_lshl_b32 s1, s1, 3
	s_add_i32 s1, s1, 0
.LBB4_10:                               ; =>This Inner Loop Header: Depth=1
	v_mov_b32_e32 v1, s1
	s_waitcnt lgkmcnt(0)
	v_max_f32_e32 v2, v6, v6
	s_add_i32 s0, s0, -1
	s_add_i32 s1, s1, 8
	s_cmp_lg_u32 s0, 0
	ds_read_b32 v1, v1
	s_waitcnt lgkmcnt(0)
	v_max_f32_e32 v1, v1, v1
	v_max_f32_e32 v6, v2, v1
	s_cbranch_scc1 .LBB4_10
.LBB4_11:
	s_cmp_lt_i32 s9, 1
	s_cbranch_scc1 .LBB4_16
; %bb.12:
	s_lshl_b32 s0, s2, 8
	s_ashr_i32 s1, s0, 31
	s_lshl_b64 s[0:1], s[0:1], 2
	s_add_u32 s7, s12, s0
	s_addc_u32 s8, s13, s1
	s_cmp_lt_u32 s9, 8
	s_cbranch_scc1 .LBB4_17
; %bb.13:
	v_or_b32_e32 v1, 0x700, v0
	v_mov_b32_e32 v4, 0
	v_mov_b32_e32 v7, 0
	;; [unrolled: 1-line block ×3, first 2 shown]
	s_and_b32 s12, s9, 0x7ffffff8
	s_mov_b32 s13, 0
	s_mov_b32 s14, 0
.LBB4_14:                               ; =>This Inner Loop Header: Depth=1
	v_add_nc_u32_e32 v3, 0xfffff900, v1
	v_mov_b32_e32 v2, v4
	v_mov_b32_e32 v21, s14
	s_add_i32 s13, s13, 8
	s_add_i32 s14, s14, 64
	v_lshlrev_b64 v[9:10], 2, v[3:4]
	v_add_nc_u32_e32 v3, 0xfffffa00, v1
	v_lshlrev_b64 v[11:12], 2, v[1:2]
	s_cmp_eq_u32 s12, s13
	v_lshlrev_b64 v[13:14], 2, v[3:4]
	v_add_nc_u32_e32 v3, 0xfffffb00, v1
	v_add_co_u32 v9, vcc_lo, s7, v9
	v_add_co_ci_u32_e64 v10, null, s8, v10, vcc_lo
	v_add_co_u32 v13, vcc_lo, s7, v13
	v_lshlrev_b64 v[15:16], 2, v[3:4]
	v_add_nc_u32_e32 v3, 0xfffffc00, v1
	v_add_co_ci_u32_e64 v14, null, s8, v14, vcc_lo
	s_clause 0x1
	global_load_dword v25, v[9:10], off
	global_load_dword v26, v[13:14], off
	v_lshlrev_b64 v[9:10], 2, v[3:4]
	v_add_nc_u32_e32 v3, 0xfffffd00, v1
	v_add_co_u32 v13, vcc_lo, s7, v15
	v_add_co_ci_u32_e64 v14, null, s8, v16, vcc_lo
	v_add_co_u32 v9, vcc_lo, s7, v9
	v_lshlrev_b64 v[15:16], 2, v[3:4]
	v_add_nc_u32_e32 v3, 0xfffffe00, v1
	v_add_co_ci_u32_e64 v10, null, s8, v10, vcc_lo
	s_clause 0x1
	global_load_dword v27, v[13:14], off
	global_load_dword v28, v[9:10], off
	v_lshlrev_b64 v[13:14], 2, v[3:4]
	v_add_nc_u32_e32 v3, 0xffffff00, v1
	v_add_co_u32 v9, vcc_lo, s7, v15
	v_add_co_ci_u32_e64 v10, null, s8, v16, vcc_lo
	v_add_co_u32 v13, vcc_lo, s7, v13
	v_lshlrev_b64 v[2:3], 2, v[3:4]
	v_add_co_ci_u32_e64 v14, null, s8, v14, vcc_lo
	s_clause 0x1
	global_load_dword v29, v[9:10], off
	global_load_dword v30, v[13:14], off
	v_add_co_u32 v2, vcc_lo, s7, v2
	v_add_co_ci_u32_e64 v3, null, s8, v3, vcc_lo
	v_add_co_u32 v9, vcc_lo, s7, v11
	v_add_co_ci_u32_e64 v10, null, s8, v12, vcc_lo
	s_clause 0x1
	global_load_dword v2, v[2:3], off
	global_load_dword v3, v[9:10], off
	ds_read2_b64 v[9:12], v21 offset1:1
	ds_read2_b64 v[13:16], v21 offset0:2 offset1:3
	ds_read2_b64 v[17:20], v21 offset0:4 offset1:5
	;; [unrolled: 1-line block ×3, first 2 shown]
	v_add_nc_u32_e32 v1, 0x800, v1
	s_waitcnt lgkmcnt(3)
	v_sub_f32_e32 v9, v9, v6
	v_sub_f32_e32 v11, v11, v6
	s_waitcnt lgkmcnt(2)
	v_sub_f32_e32 v13, v13, v6
	v_sub_f32_e32 v15, v15, v6
	s_waitcnt lgkmcnt(1)
	v_sub_f32_e32 v17, v17, v6
	v_mul_f32_e32 v31, 0x3fb8aa3b, v9
	v_mul_f32_e32 v32, 0x3fb8aa3b, v11
	;; [unrolled: 1-line block ×4, first 2 shown]
	v_sub_f32_e32 v19, v19, v6
	v_fma_f32 v39, 0x3fb8aa3b, v9, -v31
	v_rndne_f32_e32 v40, v31
	v_fma_f32 v41, 0x3fb8aa3b, v11, -v32
	v_rndne_f32_e32 v42, v32
	v_fma_f32 v43, 0x3fb8aa3b, v13, -v33
	v_fmac_f32_e32 v39, 0x32a5705f, v9
	v_sub_f32_e32 v31, v31, v40
	v_rndne_f32_e32 v44, v33
	v_fmac_f32_e32 v41, 0x32a5705f, v11
	v_sub_f32_e32 v32, v32, v42
	v_fmac_f32_e32 v43, 0x32a5705f, v13
	v_add_f32_e32 v31, v31, v39
	v_sub_f32_e32 v33, v33, v44
	v_mul_f32_e32 v35, 0x3fb8aa3b, v17
	v_add_f32_e32 v32, v32, v41
	v_fma_f32 v45, 0x3fb8aa3b, v15, -v34
	v_exp_f32_e32 v31, v31
	v_rndne_f32_e32 v46, v34
	v_add_f32_e32 v33, v33, v43
	v_cvt_i32_f32_e32 v40, v40
	v_exp_f32_e32 v32, v32
	s_waitcnt lgkmcnt(0)
	v_sub_f32_e32 v21, v21, v6
	v_mul_f32_e32 v36, 0x3fb8aa3b, v19
	v_fma_f32 v47, 0x3fb8aa3b, v17, -v35
	v_rndne_f32_e32 v48, v35
	v_cvt_i32_f32_e32 v42, v42
	v_fmac_f32_e32 v45, 0x32a5705f, v15
	v_sub_f32_e32 v34, v34, v46
	v_exp_f32_e32 v33, v33
	v_ldexp_f32 v31, v31, v40
	v_cmp_ngt_f32_e64 s5, 0xc2ce8ed0, v9
	v_sub_f32_e32 v23, v23, v6
	v_mul_f32_e32 v37, 0x3fb8aa3b, v21
	v_fma_f32 v49, 0x3fb8aa3b, v19, -v36
	v_rndne_f32_e32 v50, v36
	v_cvt_i32_f32_e32 v44, v44
	v_fmac_f32_e32 v47, 0x32a5705f, v17
	v_sub_f32_e32 v35, v35, v48
	v_add_f32_e32 v34, v34, v45
	v_ldexp_f32 v32, v32, v42
	v_cndmask_b32_e64 v31, 0, v31, s5
	v_cmp_ngt_f32_e64 s5, 0xc2ce8ed0, v11
	v_mul_f32_e32 v38, 0x3fb8aa3b, v23
	v_fma_f32 v51, 0x3fb8aa3b, v21, -v37
	v_rndne_f32_e32 v39, v37
	v_fmac_f32_e32 v49, 0x32a5705f, v19
	v_sub_f32_e32 v36, v36, v50
	v_add_f32_e32 v35, v35, v47
	v_exp_f32_e32 v34, v34
	v_ldexp_f32 v33, v33, v44
	v_cmp_ngt_f32_e32 vcc_lo, 0xc2ce8ed0, v13
	v_cndmask_b32_e64 v32, 0, v32, s5
	v_cmp_nlt_f32_e64 s5, 0x42b17218, v9
	v_fma_f32 v41, 0x3fb8aa3b, v23, -v38
	v_rndne_f32_e32 v43, v38
	v_cvt_i32_f32_e32 v46, v46
	v_fmac_f32_e32 v51, 0x32a5705f, v21
	v_sub_f32_e32 v37, v37, v39
	v_add_f32_e32 v36, v36, v49
	v_exp_f32_e32 v35, v35
	v_cndmask_b32_e64 v9, 0x7f800000, v31, s5
	v_cndmask_b32_e32 v31, 0, v33, vcc_lo
	v_cmp_nlt_f32_e32 vcc_lo, 0x42b17218, v11
	v_cvt_i32_f32_e32 v48, v48
	v_fmac_f32_e32 v41, 0x32a5705f, v23
	v_sub_f32_e32 v38, v38, v43
	v_add_f32_e32 v37, v37, v51
	v_exp_f32_e32 v36, v36
	v_ldexp_f32 v34, v34, v46
	v_cmp_ngt_f32_e64 s0, 0xc2ce8ed0, v15
	v_cndmask_b32_e32 v11, 0x7f800000, v32, vcc_lo
	v_fmac_f32_e32 v8, v9, v10
	v_cmp_nlt_f32_e32 vcc_lo, 0x42b17218, v13
	v_cvt_i32_f32_e32 v50, v50
	v_add_f32_e32 v38, v38, v41
	v_exp_f32_e32 v37, v37
	v_ldexp_f32 v35, v35, v48
	v_cmp_ngt_f32_e64 s1, 0xc2ce8ed0, v17
	v_cndmask_b32_e32 v10, 0x7f800000, v31, vcc_lo
	v_fmac_f32_e32 v8, v11, v12
	v_cmp_nlt_f32_e32 vcc_lo, 0x42b17218, v15
	v_cvt_i32_f32_e32 v39, v39
	v_exp_f32_e32 v38, v38
	v_ldexp_f32 v36, v36, v50
	v_cmp_ngt_f32_e64 s2, 0xc2ce8ed0, v19
	v_fmac_f32_e32 v8, v10, v14
	v_cvt_i32_f32_e32 v43, v43
	v_ldexp_f32 v37, v37, v39
	v_cmp_ngt_f32_e64 s3, 0xc2ce8ed0, v21
	v_cmp_ngt_f32_e64 s4, 0xc2ce8ed0, v23
	v_ldexp_f32 v38, v38, v43
	s_waitcnt vmcnt(7)
	v_fmac_f32_e32 v7, v25, v9
	v_cndmask_b32_e64 v9, 0, v34, s0
	s_waitcnt vmcnt(6)
	v_fmac_f32_e32 v7, v26, v11
	v_cndmask_b32_e64 v11, 0, v35, s1
	v_cndmask_b32_e32 v9, 0x7f800000, v9, vcc_lo
	v_cmp_nlt_f32_e32 vcc_lo, 0x42b17218, v17
	v_fmac_f32_e32 v8, v9, v16
	v_cndmask_b32_e32 v11, 0x7f800000, v11, vcc_lo
	v_cmp_nlt_f32_e32 vcc_lo, 0x42b17218, v19
	s_waitcnt vmcnt(5)
	v_fmac_f32_e32 v7, v27, v10
	v_cndmask_b32_e64 v10, 0, v36, s2
	v_fmac_f32_e32 v8, v11, v18
	s_waitcnt vmcnt(4)
	v_fmac_f32_e32 v7, v28, v9
	v_cndmask_b32_e64 v9, 0, v37, s3
	v_cndmask_b32_e32 v10, 0x7f800000, v10, vcc_lo
	v_cmp_nlt_f32_e32 vcc_lo, 0x42b17218, v21
	v_fmac_f32_e32 v8, v10, v20
	v_cndmask_b32_e32 v9, 0x7f800000, v9, vcc_lo
	v_cmp_nlt_f32_e32 vcc_lo, 0x42b17218, v23
	s_waitcnt vmcnt(3)
	v_fmac_f32_e32 v7, v29, v11
	v_cndmask_b32_e64 v11, 0, v38, s4
	v_fmac_f32_e32 v8, v9, v22
	s_waitcnt vmcnt(2)
	v_fmac_f32_e32 v7, v30, v10
	v_cndmask_b32_e32 v10, 0x7f800000, v11, vcc_lo
	s_waitcnt vmcnt(1)
	v_fmac_f32_e32 v7, v2, v9
	v_fmac_f32_e32 v8, v10, v24
	s_waitcnt vmcnt(0)
	v_fmac_f32_e32 v7, v3, v10
	s_cbranch_scc0 .LBB4_14
; %bb.15:
	s_and_b32 s0, s9, 7
	s_cmp_eq_u32 s0, 0
	s_cbranch_scc0 .LBB4_18
	s_branch .LBB4_20
.LBB4_16:
	v_mov_b32_e32 v0, 0x7fc00000
	s_branch .LBB4_21
.LBB4_17:
	v_mov_b32_e32 v7, 0
	v_mov_b32_e32 v8, 0
	s_mov_b32 s12, 0
	s_and_b32 s0, s9, 7
	s_cmp_eq_u32 s0, 0
	s_cbranch_scc1 .LBB4_20
.LBB4_18:
	v_lshl_or_b32 v0, s12, 8, v0
	v_mov_b32_e32 v1, 0
	s_lshl_b32 s1, s12, 3
	s_add_i32 s1, s1, 0
	s_inst_prefetch 0x1
	.p2align	6
.LBB4_19:                               ; =>This Inner Loop Header: Depth=1
	v_lshlrev_b64 v[2:3], 2, v[0:1]
	v_add_nc_u32_e32 v0, 0x100, v0
	s_add_i32 s0, s0, -1
	v_add_co_u32 v2, vcc_lo, s7, v2
	v_add_co_ci_u32_e64 v3, null, s8, v3, vcc_lo
	global_load_dword v4, v[2:3], off
	v_mov_b32_e32 v2, s1
	s_add_i32 s1, s1, 8
	s_cmp_lg_u32 s0, 0
	ds_read_b64 v[2:3], v2
	s_waitcnt lgkmcnt(0)
	v_sub_f32_e32 v2, v2, v6
	v_mul_f32_e32 v9, 0x3fb8aa3b, v2
	v_cmp_ngt_f32_e32 vcc_lo, 0xc2ce8ed0, v2
	v_fma_f32 v10, 0x3fb8aa3b, v2, -v9
	v_rndne_f32_e32 v11, v9
	v_fmac_f32_e32 v10, 0x32a5705f, v2
	v_sub_f32_e32 v9, v9, v11
	v_add_f32_e32 v9, v9, v10
	v_cvt_i32_f32_e32 v10, v11
	v_exp_f32_e32 v9, v9
	v_ldexp_f32 v9, v9, v10
	v_cndmask_b32_e32 v9, 0, v9, vcc_lo
	v_cmp_nlt_f32_e32 vcc_lo, 0x42b17218, v2
	v_cndmask_b32_e32 v2, 0x7f800000, v9, vcc_lo
	v_fmac_f32_e32 v8, v2, v3
	s_waitcnt vmcnt(0)
	v_fmac_f32_e32 v7, v4, v2
	s_cbranch_scc1 .LBB4_19
.LBB4_20:
	s_inst_prefetch 0x2
	v_div_scale_f32 v0, null, v8, v8, v7
	v_rcp_f32_e32 v1, v0
	v_fma_f32 v2, -v0, v1, 1.0
	v_fmac_f32_e32 v1, v2, v1
	v_div_scale_f32 v2, vcc_lo, v7, v8, v7
	v_mul_f32_e32 v3, v2, v1
	v_fma_f32 v4, -v0, v3, v2
	v_fmac_f32_e32 v3, v4, v1
	v_fma_f32 v0, -v0, v3, v2
	v_div_fmas_f32 v0, v0, v1, v3
	v_div_fixup_f32 v0, v0, v8, v7
.LBB4_21:
	s_lshl_b32 s0, s6, 8
	s_ashr_i32 s1, s0, 31
	s_lshl_b64 s[0:1], s[0:1], 2
	s_add_u32 s0, s10, s0
	s_addc_u32 s1, s11, s1
	global_store_dword v5, v0, s[0:1]
	s_endpgm
	.section	.rodata,"a",@progbits
	.p2align	6, 0x0
	.amdhsa_kernel _ZL26flash_attn_combine_resultsILi256EEvPKfPK15HIP_vector_typeIfLj2EEPfi
		.amdhsa_group_segment_fixed_size 0
		.amdhsa_private_segment_fixed_size 0
		.amdhsa_kernarg_size 288
		.amdhsa_user_sgpr_count 6
		.amdhsa_user_sgpr_private_segment_buffer 1
		.amdhsa_user_sgpr_dispatch_ptr 0
		.amdhsa_user_sgpr_queue_ptr 0
		.amdhsa_user_sgpr_kernarg_segment_ptr 1
		.amdhsa_user_sgpr_dispatch_id 0
		.amdhsa_user_sgpr_flat_scratch_init 0
		.amdhsa_user_sgpr_private_segment_size 0
		.amdhsa_wavefront_size32 1
		.amdhsa_uses_dynamic_stack 0
		.amdhsa_system_sgpr_private_segment_wavefront_offset 0
		.amdhsa_system_sgpr_workgroup_id_x 1
		.amdhsa_system_sgpr_workgroup_id_y 1
		.amdhsa_system_sgpr_workgroup_id_z 1
		.amdhsa_system_sgpr_workgroup_info 0
		.amdhsa_system_vgpr_workitem_id 0
		.amdhsa_next_free_vgpr 52
		.amdhsa_next_free_sgpr 18
		.amdhsa_reserve_vcc 1
		.amdhsa_reserve_flat_scratch 0
		.amdhsa_float_round_mode_32 0
		.amdhsa_float_round_mode_16_64 0
		.amdhsa_float_denorm_mode_32 3
		.amdhsa_float_denorm_mode_16_64 3
		.amdhsa_dx10_clamp 1
		.amdhsa_ieee_mode 1
		.amdhsa_fp16_overflow 0
		.amdhsa_workgroup_processor_mode 1
		.amdhsa_memory_ordered 1
		.amdhsa_forward_progress 1
		.amdhsa_shared_vgpr_count 0
		.amdhsa_exception_fp_ieee_invalid_op 0
		.amdhsa_exception_fp_denorm_src 0
		.amdhsa_exception_fp_ieee_div_zero 0
		.amdhsa_exception_fp_ieee_overflow 0
		.amdhsa_exception_fp_ieee_underflow 0
		.amdhsa_exception_fp_ieee_inexact 0
		.amdhsa_exception_int_div_zero 0
	.end_amdhsa_kernel
	.section	.text._ZL26flash_attn_combine_resultsILi256EEvPKfPK15HIP_vector_typeIfLj2EEPfi,"axG",@progbits,_ZL26flash_attn_combine_resultsILi256EEvPKfPK15HIP_vector_typeIfLj2EEPfi,comdat
.Lfunc_end4:
	.size	_ZL26flash_attn_combine_resultsILi256EEvPKfPK15HIP_vector_typeIfLj2EEPfi, .Lfunc_end4-_ZL26flash_attn_combine_resultsILi256EEvPKfPK15HIP_vector_typeIfLj2EEPfi
                                        ; -- End function
	.set _ZL26flash_attn_combine_resultsILi256EEvPKfPK15HIP_vector_typeIfLj2EEPfi.num_vgpr, 52
	.set _ZL26flash_attn_combine_resultsILi256EEvPKfPK15HIP_vector_typeIfLj2EEPfi.num_agpr, 0
	.set _ZL26flash_attn_combine_resultsILi256EEvPKfPK15HIP_vector_typeIfLj2EEPfi.numbered_sgpr, 18
	.set _ZL26flash_attn_combine_resultsILi256EEvPKfPK15HIP_vector_typeIfLj2EEPfi.num_named_barrier, 0
	.set _ZL26flash_attn_combine_resultsILi256EEvPKfPK15HIP_vector_typeIfLj2EEPfi.private_seg_size, 0
	.set _ZL26flash_attn_combine_resultsILi256EEvPKfPK15HIP_vector_typeIfLj2EEPfi.uses_vcc, 1
	.set _ZL26flash_attn_combine_resultsILi256EEvPKfPK15HIP_vector_typeIfLj2EEPfi.uses_flat_scratch, 0
	.set _ZL26flash_attn_combine_resultsILi256EEvPKfPK15HIP_vector_typeIfLj2EEPfi.has_dyn_sized_stack, 0
	.set _ZL26flash_attn_combine_resultsILi256EEvPKfPK15HIP_vector_typeIfLj2EEPfi.has_recursion, 0
	.set _ZL26flash_attn_combine_resultsILi256EEvPKfPK15HIP_vector_typeIfLj2EEPfi.has_indirect_call, 0
	.section	.AMDGPU.csdata,"",@progbits
; Kernel info:
; codeLenInByte = 2264
; TotalNumSgprs: 20
; NumVgprs: 52
; ScratchSize: 0
; MemoryBound: 0
; FloatMode: 240
; IeeeMode: 1
; LDSByteSize: 0 bytes/workgroup (compile time only)
; SGPRBlocks: 0
; VGPRBlocks: 6
; NumSGPRsForWavesPerEU: 20
; NumVGPRsForWavesPerEU: 52
; Occupancy: 16
; WaveLimiterHint : 0
; COMPUTE_PGM_RSRC2:SCRATCH_EN: 0
; COMPUTE_PGM_RSRC2:USER_SGPR: 6
; COMPUTE_PGM_RSRC2:TRAP_HANDLER: 0
; COMPUTE_PGM_RSRC2:TGID_X_EN: 1
; COMPUTE_PGM_RSRC2:TGID_Y_EN: 1
; COMPUTE_PGM_RSRC2:TGID_Z_EN: 1
; COMPUTE_PGM_RSRC2:TIDIG_COMP_CNT: 0
	.section	.text._ZL15flash_attn_tileILi320ELi256ELi1ELi32ELb1EEvPKcS1_S1_S1_S1_PKiPfP15HIP_vector_typeIfLj2EEffffjfiS5_IjLj3EEiiiiiiiiiiiliiliiiiil,"axG",@progbits,_ZL15flash_attn_tileILi320ELi256ELi1ELi32ELb1EEvPKcS1_S1_S1_S1_PKiPfP15HIP_vector_typeIfLj2EEffffjfiS5_IjLj3EEiiiiiiiiiiiliiliiiiil,comdat
	.globl	_ZL15flash_attn_tileILi320ELi256ELi1ELi32ELb1EEvPKcS1_S1_S1_S1_PKiPfP15HIP_vector_typeIfLj2EEffffjfiS5_IjLj3EEiiiiiiiiiiiliiliiiiil ; -- Begin function _ZL15flash_attn_tileILi320ELi256ELi1ELi32ELb1EEvPKcS1_S1_S1_S1_PKiPfP15HIP_vector_typeIfLj2EEffffjfiS5_IjLj3EEiiiiiiiiiiiliiliiiiil
	.p2align	8
	.type	_ZL15flash_attn_tileILi320ELi256ELi1ELi32ELb1EEvPKcS1_S1_S1_S1_PKiPfP15HIP_vector_typeIfLj2EEffffjfiS5_IjLj3EEiiiiiiiiiiiliiliiiiil,@function
_ZL15flash_attn_tileILi320ELi256ELi1ELi32ELb1EEvPKcS1_S1_S1_S1_PKiPfP15HIP_vector_typeIfLj2EEffffjfiS5_IjLj3EEiiiiiiiiiiiliiliiiiil: ; @_ZL15flash_attn_tileILi320ELi256ELi1ELi32ELb1EEvPKcS1_S1_S1_S1_PKiPfP15HIP_vector_typeIfLj2EEffffjfiS5_IjLj3EEiiiiiiiiiiiliiliiiiil
; %bb.0:
	s_clause 0x1
	s_load_dwordx4 s[0:3], s[4:5], 0x5c
	s_load_dwordx2 s[30:31], s[4:5], 0x80
	s_mov_b32 s28, s7
	s_mov_b64 s[34:35], 0
	s_waitcnt lgkmcnt(0)
	s_ashr_i32 s7, s3, 31
	s_lshr_b32 s7, s7, 27
	s_add_i32 s7, s3, s7
	s_ashr_i32 s7, s7, 5
	v_cvt_f32_u32_e32 v2, s7
	s_sub_i32 s10, 0, s7
	v_rcp_iflag_f32_e32 v2, v2
	v_mul_f32_e32 v2, 0x4f7ffffe, v2
	v_cvt_u32_f32_e32 v2, v2
	v_readfirstlane_b32 s9, v2
	s_mul_i32 s10, s10, s9
	s_mul_hi_u32 s10, s9, s10
	s_add_i32 s9, s9, s10
	s_mul_hi_u32 s9, s8, s9
	s_mul_i32 s10, s9, s7
	s_add_i32 s11, s9, 1
	s_sub_i32 s10, s8, s10
	s_sub_i32 s12, s10, s7
	s_cmp_ge_u32 s10, s7
	s_cselect_b32 s9, s11, s9
	s_cselect_b32 s10, s12, s10
	s_add_i32 s11, s9, 1
	s_cmp_ge_u32 s10, s7
	s_cselect_b32 s7, s11, s9
	s_abs_i32 s9, s31
	s_lshl_b32 s8, s8, 5
	v_cvt_f32_u32_e32 v2, s9
	s_sub_i32 s11, 0, s9
	s_mul_i32 s12, s7, s3
	s_abs_i32 s13, s3
	s_sub_i32 s29, s8, s12
	v_rcp_iflag_f32_e32 v2, v2
	v_mul_f32_e32 v2, 0x4f7ffffe, v2
	v_cvt_u32_f32_e32 v2, v2
	v_readfirstlane_b32 s10, v2
	s_mul_i32 s11, s11, s10
	s_mul_hi_u32 s11, s10, s11
	s_add_i32 s10, s10, s11
	s_mul_hi_u32 s8, s13, s10
	s_xor_b32 s10, s3, s31
	s_mul_i32 s11, s8, s9
	s_ashr_i32 s10, s10, 31
	s_sub_i32 s11, s13, s11
	s_add_i32 s12, s8, 1
	s_sub_i32 s13, s11, s9
	s_cmp_ge_u32 s11, s9
	s_cselect_b32 s8, s12, s8
	s_cselect_b32 s11, s13, s11
	s_add_i32 s12, s8, 1
	s_cmp_ge_u32 s11, s9
	s_cselect_b32 s8, s12, s8
	s_xor_b32 s8, s8, s10
	s_sub_i32 s33, s8, s10
	s_clause 0x1
	s_load_dwordx16 s[8:23], s[4:5], 0x0
	s_load_dwordx2 s[36:37], s[4:5], 0xb8
	s_abs_i32 s31, s33
	v_cvt_f32_u32_e32 v2, s31
	v_rcp_iflag_f32_e32 v2, v2
	v_mul_f32_e32 v2, 0x4f7ffffe, v2
	s_waitcnt lgkmcnt(0)
	s_cmp_eq_u64 s[14:15], 0
	v_cvt_u32_f32_e32 v2, v2
	v_readfirstlane_b32 s38, v2
	s_cbranch_scc1 .LBB5_2
; %bb.1:
	s_abs_i32 s26, s36
	s_abs_i32 s27, s7
	v_cvt_f32_u32_e32 v2, s26
	s_sub_i32 s25, 0, s26
	v_rcp_iflag_f32_e32 v2, v2
	v_mul_f32_e32 v2, 0x4f7ffffe, v2
	v_cvt_u32_f32_e32 v2, v2
	v_readfirstlane_b32 s24, v2
	s_mul_i32 s25, s25, s24
	s_mul_hi_u32 s25, s24, s25
	s_add_i32 s24, s24, s25
	s_mul_hi_u32 s34, s27, s24
	s_load_dwordx2 s[24:25], s[4:5], 0xc8
	s_mul_i32 s34, s34, s26
	s_sub_i32 s27, s27, s34
	s_ashr_i32 s34, s7, 31
	s_sub_i32 s35, s27, s26
	s_cmp_ge_u32 s27, s26
	s_cselect_b32 s27, s35, s27
	s_sub_i32 s35, s27, s26
	s_cmp_ge_u32 s27, s26
	s_cselect_b32 s26, s35, s27
	s_xor_b32 s26, s26, s34
	s_sub_i32 s26, s26, s34
	s_ashr_i32 s27, s26, 31
	s_waitcnt lgkmcnt(0)
	s_mul_hi_u32 s34, s24, s26
	s_mul_i32 s27, s24, s27
	s_mul_i32 s25, s25, s26
	s_add_i32 s27, s34, s27
	s_mul_i32 s24, s24, s26
	s_add_i32 s27, s27, s25
	s_add_u32 s34, s14, s24
	s_addc_u32 s35, s15, s27
.LBB5_2:
	v_lshrrev_b32_e32 v2, 3, v1
	s_load_dwordx4 s[24:27], s[4:5], 0x70
	v_lshlrev_b32_e32 v5, 2, v1
	v_lshlrev_b32_e32 v8, 4, v0
	;; [unrolled: 1-line block ×3, first 2 shown]
	v_add_nc_u32_e32 v13, s6, v2
	v_mul_u32_u24_e32 v30, 0xa00, v1
	v_and_b32_e32 v12, 28, v5
	v_mul_hi_u32 v2, s0, v13
	v_add_nc_u32_e32 v2, v13, v2
	s_waitcnt lgkmcnt(0)
	s_mul_i32 s14, s29, s25
	s_mov_b32 s0, s25
	v_lshrrev_b32_e32 v2, s1, v2
	s_mul_i32 s1, s7, s26
	s_ashr_i32 s15, s1, 31
	s_add_u32 s1, s8, s1
	v_mul_lo_u32 v2, v2, s2
	s_addc_u32 s8, s9, s15
	s_ashr_i32 s9, s14, 31
	s_add_u32 s14, s1, s14
	s_addc_u32 s15, s8, s9
	s_ashr_i32 s1, s25, 31
	s_ashr_i32 s25, s24, 31
	s_lshr_b64 s[8:9], s[24:25], 2
	v_sub_nc_u32_e32 v4, v13, v2
	v_mad_u64_u32 v[2:3], null, s8, v4, 0
	s_lshr_b32 s8, s25, 2
	v_mad_u64_u32 v[6:7], null, s8, v4, v[3:4]
	s_lshr_b64 s[8:9], s[0:1], 2
	v_mov_b32_e32 v3, v6
	v_mad_u64_u32 v[6:7], null, s8, v12, 0
	v_lshlrev_b64 v[2:3], 2, v[2:3]
	v_mad_i32_i24 v7, s1, v12, v7
	s_load_dword s1, s[4:5], 0x40
	v_add_co_u32 v9, vcc_lo, s14, v2
	v_add_co_ci_u32_e64 v10, null, s15, v3, vcc_lo
	v_lshlrev_b64 v[2:3], 2, v[6:7]
	v_add_co_u32 v6, vcc_lo, v9, v8
	v_add_co_ci_u32_e64 v7, null, 0, v10, vcc_lo
	v_add_co_u32 v2, vcc_lo, v6, v2
	v_add_co_ci_u32_e64 v3, null, v7, v3, vcc_lo
	v_cmp_gt_u32_e32 vcc_lo, 16, v0
	s_clause 0x1
	global_load_dwordx4 v[8:11], v[2:3], off
	global_load_dwordx4 v[14:17], v[2:3], off offset:512
	s_waitcnt vmcnt(1) lgkmcnt(0)
	v_fma_mixlo_f16 v8, s1, v8, 0
	v_fma_mixlo_f16 v9, s1, v9, 0
	s_waitcnt vmcnt(0)
	v_fma_mixlo_f16 v14, s1, v14, 0
	v_fma_mixlo_f16 v15, s1, v15, 0
	;; [unrolled: 1-line block ×6, first 2 shown]
	v_lshlrev_b32_e32 v9, 16, v9
	v_and_b32_e32 v8, 0xffff, v8
	v_lshlrev_b32_e32 v15, 16, v15
	v_and_b32_e32 v14, 0xffff, v14
	;; [unrolled: 2-line block ×4, first 2 shown]
	v_or_b32_e32 v8, v9, v8
	v_or_b32_e32 v14, v15, v14
	v_mad_u32_u24 v15, 0xa00, v1, v29
	v_or3_b32 v9, v11, v10, 0
	v_or3_b32 v11, v17, v16, 0
	;; [unrolled: 1-line block ×4, first 2 shown]
	ds_write2_b64 v15, v[8:9], v[10:11] offset1:32
	s_and_saveexec_b32 s0, vcc_lo
	s_cbranch_execz .LBB5_4
; %bb.3:
	global_load_dwordx4 v[8:11], v[2:3], off offset:1024
	s_waitcnt vmcnt(0)
	v_fma_mixlo_f16 v2, s1, v9, 0
	v_fma_mixlo_f16 v3, s1, v8, 0
	v_fma_mixlo_f16 v8, s1, v10, 0
	v_fma_mixlo_f16 v9, s1, v11, 0
	v_lshlrev_b32_e32 v2, 16, v2
	v_and_b32_e32 v3, 0xffff, v3
	v_and_b32_e32 v8, 0xffff, v8
	v_lshlrev_b32_e32 v9, 16, v9
	v_or_b32_e32 v2, v2, v3
	v_or3_b32 v3, v9, v8, 0
	v_add_nc_u32_e32 v8, v29, v30
	v_or3_b32 v2, 0, 0, v2
	ds_write_b64 v8, v[2:3] offset:512
.LBB5_4:
	s_or_b32 exec_lo, exec_lo, s0
	v_or_b32_e32 v18, 1, v5
	v_and_b32_e32 v8, 29, v18
	v_mul_u32_u24_e32 v19, 0x280, v18
	v_mad_u32_u24 v18, 0x280, v18, v29
	v_mad_u64_u32 v[2:3], null, s8, v8, 0
	v_mad_u64_u32 v[8:9], null, s9, v8, v[3:4]
	v_mov_b32_e32 v3, v8
	v_lshlrev_b64 v[2:3], 2, v[2:3]
	v_add_co_u32 v2, s0, v6, v2
	v_add_co_ci_u32_e64 v3, null, v7, v3, s0
	s_clause 0x1
	global_load_dwordx4 v[8:11], v[2:3], off
	global_load_dwordx4 v[14:17], v[2:3], off offset:512
	s_waitcnt vmcnt(1)
	v_fma_mixlo_f16 v8, s1, v8, 0
	v_fma_mixlo_f16 v9, s1, v9, 0
	s_waitcnt vmcnt(0)
	v_fma_mixlo_f16 v14, s1, v14, 0
	v_fma_mixlo_f16 v15, s1, v15, 0
	;; [unrolled: 1-line block ×6, first 2 shown]
	v_lshlrev_b32_e32 v9, 16, v9
	v_and_b32_e32 v8, 0xffff, v8
	v_lshlrev_b32_e32 v15, 16, v15
	v_and_b32_e32 v14, 0xffff, v14
	;; [unrolled: 2-line block ×4, first 2 shown]
	v_or_b32_e32 v8, v9, v8
	v_or_b32_e32 v14, v15, v14
	v_or3_b32 v10, v11, v10, 0
	v_or3_b32 v15, v17, v16, 0
	v_or3_b32 v9, 0, 0, v8
	v_or3_b32 v14, 0, 0, v14
	v_add_nc_u32_e32 v8, v29, v19
	ds_write2_b64 v18, v[9:10], v[14:15] offset1:32
	s_and_saveexec_b32 s0, vcc_lo
	s_cbranch_execz .LBB5_6
; %bb.5:
	global_load_dwordx4 v[14:17], v[2:3], off offset:1024
	s_waitcnt vmcnt(0)
	v_fma_mixlo_f16 v2, s1, v15, 0
	v_fma_mixlo_f16 v3, s1, v14, 0
	;; [unrolled: 1-line block ×4, first 2 shown]
	v_lshlrev_b32_e32 v2, 16, v2
	v_and_b32_e32 v3, 0xffff, v3
	v_and_b32_e32 v9, 0xffff, v9
	v_lshlrev_b32_e32 v10, 16, v10
	v_or_b32_e32 v2, v2, v3
	v_or3_b32 v3, v10, v9, 0
	v_or3_b32 v2, 0, 0, v2
	ds_write_b64 v8, v[2:3] offset:512
.LBB5_6:
	s_or_b32 exec_lo, exec_lo, s0
	v_or_b32_e32 v2, 2, v5
	v_and_b32_e32 v9, 30, v2
	v_mad_u64_u32 v[2:3], null, s8, v9, 0
	v_mad_u64_u32 v[9:10], null, s9, v9, v[3:4]
	v_mov_b32_e32 v3, v9
	v_lshlrev_b64 v[2:3], 2, v[2:3]
	v_add_co_u32 v2, s0, v6, v2
	v_add_co_ci_u32_e64 v3, null, v7, v3, s0
	s_clause 0x1
	global_load_dwordx4 v[14:17], v[2:3], off
	global_load_dwordx4 v[18:21], v[2:3], off offset:512
	s_waitcnt vmcnt(1)
	v_fma_mixlo_f16 v9, s1, v14, 0
	v_fma_mixlo_f16 v10, s1, v15, 0
	;; [unrolled: 1-line block ×3, first 2 shown]
	s_waitcnt vmcnt(0)
	v_fma_mixlo_f16 v15, s1, v18, 0
	v_fma_mixlo_f16 v16, s1, v19, 0
	;; [unrolled: 1-line block ×5, first 2 shown]
	v_lshlrev_b32_e32 v10, 16, v10
	v_and_b32_e32 v9, 0xffff, v9
	v_lshlrev_b32_e32 v16, 16, v16
	v_and_b32_e32 v15, 0xffff, v15
	;; [unrolled: 2-line block ×4, first 2 shown]
	v_or_b32_e32 v9, v10, v9
	v_or_b32_e32 v16, v16, v15
	v_or3_b32 v10, v14, v11, 0
	v_or3_b32 v15, v18, v17, 0
	v_or3_b32 v9, 0, 0, v9
	v_or3_b32 v14, 0, 0, v16
	ds_write2_b64 v8, v[9:10], v[14:15] offset0:80 offset1:112
	s_and_saveexec_b32 s0, vcc_lo
	s_cbranch_execz .LBB5_8
; %bb.7:
	global_load_dwordx4 v[14:17], v[2:3], off offset:1024
	s_waitcnt vmcnt(0)
	v_fma_mixlo_f16 v2, s1, v15, 0
	v_fma_mixlo_f16 v3, s1, v14, 0
	v_fma_mixlo_f16 v9, s1, v16, 0
	v_fma_mixlo_f16 v10, s1, v17, 0
	v_lshlrev_b32_e32 v2, 16, v2
	v_and_b32_e32 v3, 0xffff, v3
	v_and_b32_e32 v9, 0xffff, v9
	v_lshlrev_b32_e32 v10, 16, v10
	v_or_b32_e32 v2, v2, v3
	v_or3_b32 v3, v10, v9, 0
	v_or3_b32 v2, 0, 0, v2
	ds_write_b64 v8, v[2:3] offset:1152
.LBB5_8:
	s_or_b32 exec_lo, exec_lo, s0
	v_or_b32_e32 v2, 3, v5
	v_and_b32_e32 v9, 31, v2
	v_mad_u64_u32 v[2:3], null, s8, v9, 0
	v_mad_u64_u32 v[9:10], null, s9, v9, v[3:4]
	v_mov_b32_e32 v3, v9
	v_lshlrev_b64 v[2:3], 2, v[2:3]
	v_add_co_u32 v2, s0, v6, v2
	v_add_co_ci_u32_e64 v3, null, v7, v3, s0
	s_clause 0x1
	global_load_dwordx4 v[14:17], v[2:3], off
	global_load_dwordx4 v[18:21], v[2:3], off offset:512
	s_waitcnt vmcnt(1)
	v_fma_mixlo_f16 v6, s1, v14, 0
	v_fma_mixlo_f16 v7, s1, v15, 0
	s_waitcnt vmcnt(0)
	v_fma_mixlo_f16 v11, s1, v18, 0
	v_fma_mixlo_f16 v14, s1, v19, 0
	;; [unrolled: 1-line block ×6, first 2 shown]
	v_lshlrev_b32_e32 v7, 16, v7
	v_and_b32_e32 v6, 0xffff, v6
	v_lshlrev_b32_e32 v14, 16, v14
	v_and_b32_e32 v11, 0xffff, v11
	;; [unrolled: 2-line block ×4, first 2 shown]
	v_or_b32_e32 v6, v7, v6
	v_or_b32_e32 v11, v14, v11
	v_or3_b32 v7, v10, v9, 0
	v_or3_b32 v10, v16, v15, 0
	v_or3_b32 v6, 0, 0, v6
	v_or3_b32 v9, 0, 0, v11
	ds_write2_b64 v8, v[6:7], v[9:10] offset0:160 offset1:192
	s_and_saveexec_b32 s0, vcc_lo
	s_cbranch_execz .LBB5_10
; %bb.9:
	global_load_dwordx4 v[14:17], v[2:3], off offset:1024
	s_waitcnt vmcnt(0)
	v_fma_mixlo_f16 v2, s1, v15, 0
	v_fma_mixlo_f16 v3, s1, v14, 0
	;; [unrolled: 1-line block ×4, first 2 shown]
	v_lshlrev_b32_e32 v2, 16, v2
	v_and_b32_e32 v3, 0xffff, v3
	v_and_b32_e32 v6, 0xffff, v6
	v_lshlrev_b32_e32 v7, 16, v7
	v_or_b32_e32 v2, v2, v3
	v_or3_b32 v3, v7, v6, 0
	v_or3_b32 v2, 0, 0, v2
	ds_write_b64 v8, v[2:3] offset:1792
.LBB5_10:
	s_or_b32 exec_lo, exec_lo, s0
	s_cmp_eq_u64 s[18:19], 0
	s_waitcnt lgkmcnt(0)
	s_barrier
	buffer_gl0_inv
	s_cbranch_scc1 .LBB5_12
; %bb.11:
	s_load_dword s0, s[4:5], 0xd0
	s_mov_b32 s1, 0
	s_waitcnt lgkmcnt(0)
	s_mul_i32 s0, s0, s7
	s_add_i32 s0, s0, s6
	s_lshl_b64 s[0:1], s[0:1], 2
	s_add_u32 s0, s18, s0
	s_addc_u32 s1, s19, s1
	s_load_dword s30, s[0:1], 0x0
.LBB5_12:
	v_lshlrev_b32_e32 v28, 2, v0
	v_mbcnt_lo_u32_b32 v31, -1, 0
	s_lshl_b32 s6, s28, 7
	s_waitcnt lgkmcnt(0)
	s_cmp_lt_i32 s6, s30
	s_cbranch_scc1 .LBB5_15
; %bb.13:
	v_mbcnt_lo_u32_b32 v6, -1, 0
	v_mov_b32_e32 v32, 32
	v_xor_b32_e32 v82, 16, v6
	v_xor_b32_e32 v27, 8, v6
	;; [unrolled: 1-line block ×5, first 2 shown]
	s_cbranch_execz .LBB5_16
; %bb.14:
	v_mov_b32_e32 v56, 0
	v_mov_b32_e32 v72, 0
	;; [unrolled: 1-line block ×24, first 2 shown]
	s_branch .LBB5_84
.LBB5_15:
                                        ; implicit-def: $vgpr6
                                        ; implicit-def: $vgpr32
                                        ; implicit-def: $vgpr82
                                        ; implicit-def: $vgpr27
                                        ; implicit-def: $vgpr26
                                        ; implicit-def: $vgpr25
                                        ; implicit-def: $vgpr24
.LBB5_16:
	s_clause 0x1
	s_load_dwordx4 s[24:27], s[4:5], 0x98
	s_load_dwordx2 s[0:1], s[4:5], 0x8c
	s_sub_i32 s8, 0, s31
	s_abs_i32 s18, s29
	s_mul_i32 s8, s8, s38
	s_ashr_i32 s36, s37, 1
	s_mul_hi_u32 s8, s38, s8
	s_ashr_i32 s19, s29, 31
	s_add_i32 s38, s38, s8
	s_ashr_i32 s33, s33, 31
	s_mul_hi_u32 s37, s18, s38
	s_ashr_i32 s38, s7, 31
	s_load_dwordx2 s[14:15], s[4:5], 0xa8
	s_mul_i32 s39, s37, s31
	v_lshrrev_b32_e32 v2, 3, v0
	v_and_b32_e32 v24, 28, v28
	v_lshlrev_b32_e32 v37, 2, v28
	v_mov_b32_e32 v46, 0
	v_lshl_add_u32 v39, v1, 10, 0x9800
	v_add_nc_u32_e32 v3, v2, v5
	s_waitcnt lgkmcnt(0)
	s_ashr_i32 s8, s26, 2
	s_ashr_i32 s9, s0, 2
	s_mul_hi_u32 s0, s24, s7
	s_mul_i32 s26, s24, s38
	s_mul_i32 s25, s25, s7
	s_add_i32 s0, s0, s26
	s_mul_i32 s24, s24, s7
	s_add_i32 s0, s0, s25
	s_add_u32 s10, s10, s24
	s_addc_u32 s0, s11, s0
	s_sub_i32 s18, s18, s39
	s_xor_b32 s11, s19, s33
	s_add_i32 s19, s37, 1
	s_sub_i32 s24, s18, s31
	s_cmp_ge_u32 s18, s31
	s_mul_i32 s15, s15, s7
	s_cselect_b32 s19, s19, s37
	s_cselect_b32 s18, s24, s18
	s_add_i32 s24, s19, 1
	s_cmp_ge_u32 s18, s31
	v_mul_lo_u32 v2, s9, v3
	s_cselect_b32 s18, s24, s19
	s_mul_hi_u32 s19, s14, s7
	s_xor_b32 s18, s18, s11
	s_mul_i32 s24, s14, s38
	s_sub_i32 s18, s18, s11
	v_mul_lo_u32 v16, s8, v1
	s_mul_i32 s1, s18, s1
	s_mul_i32 s18, s18, s27
	s_ashr_i32 s11, s1, 31
	s_add_u32 s10, s10, s1
	s_addc_u32 s11, s0, s11
	s_add_i32 s0, s19, s24
	s_mul_i32 s1, s14, s7
	s_add_i32 s0, s0, s15
	s_add_u32 s1, s12, s1
	s_addc_u32 s0, s13, s0
	s_ashr_i32 s13, s18, 31
	s_add_u32 s12, s1, s18
	s_addc_u32 s13, s0, s13
	s_lshl_b32 s0, s9, 5
	s_load_dword s14, s[4:5], 0x54
	v_add_nc_u32_e32 v8, s0, v2
	v_lshlrev_b32_e32 v5, 2, v24
	v_lshl_add_u32 v7, v1, 9, v37
	v_ashrrev_i32_e32 v17, 31, v16
	s_movk_i32 s1, 0x5000
	v_add_nc_u32_e32 v10, s0, v8
	v_mad_u32_u24 v5, 0x90, v3, v5
	v_ashrrev_i32_e32 v3, 31, v2
	v_ashrrev_i32_e32 v9, 31, v8
	v_add_nc_u32_e32 v40, 0x5000, v7
	v_add_nc_u32_e32 v14, s0, v10
	s_lshl_b32 s0, s8, 3
	v_ashrrev_i32_e32 v11, 31, v10
	v_add_nc_u32_e32 v18, s0, v16
	v_add_nc_u32_e32 v33, 0x5000, v5
	v_ashrrev_i32_e32 v15, 31, v14
	v_add_nc_u32_e32 v34, 0x6200, v5
	v_add_nc_u32_e32 v35, 0x7400, v5
	;; [unrolled: 1-line block ×3, first 2 shown]
	v_ashrrev_i32_e32 v19, 31, v18
	v_add_nc_u32_e32 v36, 0x8600, v5
	v_mad_u64_u32 v[5:6], null, v4, s36, v[0:1]
	v_add_nc_u32_e32 v22, s0, v20
	v_ashrrev_i32_e32 v21, 31, v20
	v_add_nc_u32_e32 v41, 0x6000, v7
	v_add_nc_u32_e32 v42, 0x7000, v7
	;; [unrolled: 1-line block ×3, first 2 shown]
	v_ashrrev_i32_e32 v23, 31, v22
	v_lshlrev_b64 v[6:7], 2, v[2:3]
	v_lshlrev_b64 v[8:9], 2, v[8:9]
	;; [unrolled: 1-line block ×8, first 2 shown]
	v_mad_u32_u24 v38, 0x90, v0, s1
	v_mov_b32_e32 v69, 0xfeffffff
	v_lshlrev_b32_e32 v44, 2, v24
	v_mov_b32_e32 v32, 32
	v_mov_b32_e32 v45, 0x10001
	;; [unrolled: 1-line block ×24, first 2 shown]
	s_add_u32 s0, s4, 0xd0
	s_addc_u32 s1, s5, 0
	s_mov_b32 s15, 0xbbbac73d
.LBB5_17:                               ; =>This Inner Loop Header: Depth=1
	s_mul_hi_i32 s19, s6, s9
	s_mul_i32 s18, s6, s9
	v_mov_b32_e32 v82, 0
	s_lshl_b64 s[18:19], s[18:19], 2
	v_mov_b32_e32 v78, 0
	s_add_u32 s18, s10, s18
	s_addc_u32 s19, s11, s19
	v_add_co_u32 v1, vcc_lo, s18, v6
	v_add_co_ci_u32_e64 v2, null, s19, v7, vcc_lo
	v_add_co_u32 v3, vcc_lo, s18, v8
	v_add_co_ci_u32_e64 v4, null, s19, v9, vcc_lo
	;; [unrolled: 2-line block ×8, first 2 shown]
	s_clause 0x3
	global_load_dwordx4 v[70:73], v[1:2], off
	global_load_dwordx4 v[83:86], v[3:4], off
	;; [unrolled: 1-line block ×4, first 2 shown]
	v_mov_b32_e32 v74, 0
	v_mov_b32_e32 v79, 0
	;; [unrolled: 1-line block ×7, first 2 shown]
	s_waitcnt vmcnt(3)
	ds_write_b128 v33, v[70:73]
	s_waitcnt vmcnt(2)
	ds_write_b128 v34, v[83:86]
	;; [unrolled: 2-line block ×4, first 2 shown]
	s_waitcnt lgkmcnt(0)
	s_barrier
	buffer_gl0_inv
	ds_read_b128 v[86:89], v38
	ds_read_b128 v[90:93], v30
	ds_read_b128 v[94:97], v30 offset:640
	ds_read_b128 v[98:101], v30 offset:1280
	ds_read_b128 v[102:105], v30 offset:1920
	ds_read_b128 v[106:109], v38 offset:4608
	ds_read_b128 v[110:113], v38 offset:9216
	ds_read_b128 v[114:117], v38 offset:13824
	s_waitcnt lgkmcnt(6)
	;;#ASMSTART
	v_dot2_f32_f16 v82, v86, v90, v82
	;;#ASMEND
	;;#ASMSTART
	v_dot2_f32_f16 v82, v87, v91, v82
	;;#ASMEND
	;; [unrolled: 3-line block ×4, first 2 shown]
	s_waitcnt lgkmcnt(5)
	;;#ASMSTART
	v_dot2_f32_f16 v78, v86, v94, v78
	;;#ASMEND
	;;#ASMSTART
	v_dot2_f32_f16 v78, v87, v95, v78
	;;#ASMEND
	;; [unrolled: 3-line block ×4, first 2 shown]
	s_waitcnt lgkmcnt(4)
	;;#ASMSTART
	v_dot2_f32_f16 v74, v86, v98, v74
	;;#ASMEND
	;;#ASMSTART
	v_dot2_f32_f16 v74, v87, v99, v74
	;;#ASMEND
	v_mov_b32_e32 v70, 0
	;;#ASMSTART
	v_dot2_f32_f16 v74, v88, v100, v74
	;;#ASMEND
	;;#ASMSTART
	v_dot2_f32_f16 v74, v89, v101, v74
	;;#ASMEND
	s_waitcnt lgkmcnt(3)
	;;#ASMSTART
	v_dot2_f32_f16 v70, v86, v102, v70
	;;#ASMEND
	;;#ASMSTART
	v_dot2_f32_f16 v70, v87, v103, v70
	;;#ASMEND
	v_mov_b32_e32 v83, 0
	;;#ASMSTART
	v_dot2_f32_f16 v70, v88, v104, v70
	;;#ASMEND
	;;#ASMSTART
	v_dot2_f32_f16 v70, v89, v105, v70
	;;#ASMEND
	s_waitcnt lgkmcnt(2)
	;;#ASMSTART
	v_dot2_f32_f16 v83, v106, v90, v83
	;;#ASMEND
	;;#ASMSTART
	v_dot2_f32_f16 v83, v107, v91, v83
	;;#ASMEND
	;;#ASMSTART
	v_dot2_f32_f16 v83, v108, v92, v83
	;;#ASMEND
	;;#ASMSTART
	v_dot2_f32_f16 v83, v109, v93, v83
	;;#ASMEND
	;;#ASMSTART
	v_dot2_f32_f16 v79, v106, v94, v79
	;;#ASMEND
	;;#ASMSTART
	v_dot2_f32_f16 v79, v107, v95, v79
	;;#ASMEND
	;;#ASMSTART
	v_dot2_f32_f16 v79, v108, v96, v79
	;;#ASMEND
	;;#ASMSTART
	v_dot2_f32_f16 v79, v109, v97, v79
	;;#ASMEND
	;;#ASMSTART
	v_dot2_f32_f16 v75, v106, v98, v75
	;;#ASMEND
	;;#ASMSTART
	v_dot2_f32_f16 v75, v107, v99, v75
	;;#ASMEND
	v_mov_b32_e32 v71, 0
	;;#ASMSTART
	v_dot2_f32_f16 v75, v108, v100, v75
	;;#ASMEND
	;;#ASMSTART
	v_dot2_f32_f16 v75, v109, v101, v75
	;;#ASMEND
	;;#ASMSTART
	v_dot2_f32_f16 v71, v106, v102, v71
	;;#ASMEND
	;;#ASMSTART
	v_dot2_f32_f16 v71, v107, v103, v71
	;;#ASMEND
	v_mov_b32_e32 v84, 0
	;;#ASMSTART
	v_dot2_f32_f16 v71, v108, v104, v71
	;;#ASMEND
	;;#ASMSTART
	v_dot2_f32_f16 v71, v109, v105, v71
	;;#ASMEND
	s_waitcnt lgkmcnt(1)
	;;#ASMSTART
	v_dot2_f32_f16 v84, v110, v90, v84
	;;#ASMEND
	;;#ASMSTART
	v_dot2_f32_f16 v84, v111, v91, v84
	;;#ASMEND
	;;#ASMSTART
	v_dot2_f32_f16 v84, v112, v92, v84
	;;#ASMEND
	;;#ASMSTART
	v_dot2_f32_f16 v84, v113, v93, v84
	;;#ASMEND
	;;#ASMSTART
	v_dot2_f32_f16 v80, v110, v94, v80
	;;#ASMEND
	;;#ASMSTART
	v_dot2_f32_f16 v80, v111, v95, v80
	;;#ASMEND
	;;#ASMSTART
	v_dot2_f32_f16 v80, v112, v96, v80
	;;#ASMEND
	;;#ASMSTART
	v_dot2_f32_f16 v80, v113, v97, v80
	;;#ASMEND
	;;#ASMSTART
	v_dot2_f32_f16 v76, v110, v98, v76
	;;#ASMEND
	;;#ASMSTART
	v_dot2_f32_f16 v76, v111, v99, v76
	;;#ASMEND
	v_mov_b32_e32 v72, 0
	;;#ASMSTART
	v_dot2_f32_f16 v76, v112, v100, v76
	;;#ASMEND
	;;#ASMSTART
	v_dot2_f32_f16 v76, v113, v101, v76
	;;#ASMEND
	;; [unrolled: 51-line block ×3, first 2 shown]
	;;#ASMSTART
	v_dot2_f32_f16 v73, v114, v102, v73
	;;#ASMEND
	;;#ASMSTART
	v_dot2_f32_f16 v73, v115, v103, v73
	;;#ASMEND
	;; [unrolled: 3-line block ×4, first 2 shown]
	ds_read_b128 v[86:89], v38 offset:16
	ds_read_b128 v[90:93], v30 offset:16
	;; [unrolled: 1-line block ×8, first 2 shown]
	s_waitcnt lgkmcnt(6)
	;;#ASMSTART
	v_dot2_f32_f16 v82, v86, v90, v82
	;;#ASMEND
	;;#ASMSTART
	v_dot2_f32_f16 v82, v87, v91, v82
	;;#ASMEND
	;;#ASMSTART
	v_dot2_f32_f16 v82, v88, v92, v82
	;;#ASMEND
	;;#ASMSTART
	v_dot2_f32_f16 v82, v89, v93, v82
	;;#ASMEND
	s_waitcnt lgkmcnt(5)
	;;#ASMSTART
	v_dot2_f32_f16 v78, v86, v94, v78
	;;#ASMEND
	;;#ASMSTART
	v_dot2_f32_f16 v78, v87, v95, v78
	;;#ASMEND
	;;#ASMSTART
	v_dot2_f32_f16 v78, v88, v96, v78
	;;#ASMEND
	;;#ASMSTART
	v_dot2_f32_f16 v78, v89, v97, v78
	;;#ASMEND
	;; [unrolled: 13-line block ×5, first 2 shown]
	;;#ASMSTART
	v_dot2_f32_f16 v79, v106, v94, v79
	;;#ASMEND
	;;#ASMSTART
	v_dot2_f32_f16 v79, v107, v95, v79
	;;#ASMEND
	;; [unrolled: 3-line block ×12, first 2 shown]
	s_waitcnt lgkmcnt(1)
	;;#ASMSTART
	v_dot2_f32_f16 v84, v110, v90, v84
	;;#ASMEND
	;;#ASMSTART
	v_dot2_f32_f16 v84, v111, v91, v84
	;;#ASMEND
	;; [unrolled: 3-line block ×16, first 2 shown]
	s_waitcnt lgkmcnt(0)
	;;#ASMSTART
	v_dot2_f32_f16 v85, v114, v90, v85
	;;#ASMEND
	;;#ASMSTART
	v_dot2_f32_f16 v85, v115, v91, v85
	;;#ASMEND
	;; [unrolled: 3-line block ×16, first 2 shown]
	ds_read_b128 v[86:89], v38 offset:32
	ds_read_b128 v[90:93], v30 offset:32
	;; [unrolled: 1-line block ×8, first 2 shown]
	s_waitcnt lgkmcnt(6)
	;;#ASMSTART
	v_dot2_f32_f16 v82, v86, v90, v82
	;;#ASMEND
	;;#ASMSTART
	v_dot2_f32_f16 v82, v87, v91, v82
	;;#ASMEND
	;;#ASMSTART
	v_dot2_f32_f16 v82, v88, v92, v82
	;;#ASMEND
	;;#ASMSTART
	v_dot2_f32_f16 v82, v89, v93, v82
	;;#ASMEND
	s_waitcnt lgkmcnt(5)
	;;#ASMSTART
	v_dot2_f32_f16 v78, v86, v94, v78
	;;#ASMEND
	;;#ASMSTART
	v_dot2_f32_f16 v78, v87, v95, v78
	;;#ASMEND
	;;#ASMSTART
	v_dot2_f32_f16 v78, v88, v96, v78
	;;#ASMEND
	;;#ASMSTART
	v_dot2_f32_f16 v78, v89, v97, v78
	;;#ASMEND
	;; [unrolled: 13-line block ×5, first 2 shown]
	;;#ASMSTART
	v_dot2_f32_f16 v79, v106, v94, v79
	;;#ASMEND
	;;#ASMSTART
	v_dot2_f32_f16 v79, v107, v95, v79
	;;#ASMEND
	;; [unrolled: 3-line block ×12, first 2 shown]
	s_waitcnt lgkmcnt(1)
	;;#ASMSTART
	v_dot2_f32_f16 v84, v110, v90, v84
	;;#ASMEND
	;;#ASMSTART
	v_dot2_f32_f16 v84, v111, v91, v84
	;;#ASMEND
	;; [unrolled: 3-line block ×16, first 2 shown]
	s_waitcnt lgkmcnt(0)
	;;#ASMSTART
	v_dot2_f32_f16 v85, v114, v90, v85
	;;#ASMEND
	;;#ASMSTART
	v_dot2_f32_f16 v85, v115, v91, v85
	;;#ASMEND
	;; [unrolled: 3-line block ×16, first 2 shown]
	ds_read_b128 v[86:89], v38 offset:48
	ds_read_b128 v[90:93], v30 offset:48
	;; [unrolled: 1-line block ×8, first 2 shown]
	s_waitcnt lgkmcnt(6)
	;;#ASMSTART
	v_dot2_f32_f16 v82, v86, v90, v82
	;;#ASMEND
	;;#ASMSTART
	v_dot2_f32_f16 v82, v87, v91, v82
	;;#ASMEND
	;;#ASMSTART
	v_dot2_f32_f16 v82, v88, v92, v82
	;;#ASMEND
	;;#ASMSTART
	v_dot2_f32_f16 v82, v89, v93, v82
	;;#ASMEND
	s_waitcnt lgkmcnt(5)
	;;#ASMSTART
	v_dot2_f32_f16 v78, v86, v94, v78
	;;#ASMEND
	;;#ASMSTART
	v_dot2_f32_f16 v78, v87, v95, v78
	;;#ASMEND
	;;#ASMSTART
	v_dot2_f32_f16 v78, v88, v96, v78
	;;#ASMEND
	;;#ASMSTART
	v_dot2_f32_f16 v78, v89, v97, v78
	;;#ASMEND
	;; [unrolled: 13-line block ×5, first 2 shown]
	;;#ASMSTART
	v_dot2_f32_f16 v79, v106, v94, v79
	;;#ASMEND
	;;#ASMSTART
	v_dot2_f32_f16 v79, v107, v95, v79
	;;#ASMEND
	;; [unrolled: 3-line block ×12, first 2 shown]
	s_waitcnt lgkmcnt(1)
	;;#ASMSTART
	v_dot2_f32_f16 v84, v110, v90, v84
	;;#ASMEND
	;;#ASMSTART
	v_dot2_f32_f16 v84, v111, v91, v84
	;;#ASMEND
	;; [unrolled: 3-line block ×16, first 2 shown]
	s_waitcnt lgkmcnt(0)
	;;#ASMSTART
	v_dot2_f32_f16 v85, v114, v90, v85
	;;#ASMEND
	;;#ASMSTART
	v_dot2_f32_f16 v85, v115, v91, v85
	;;#ASMEND
	;; [unrolled: 3-line block ×16, first 2 shown]
	ds_read_b128 v[86:89], v38 offset:64
	ds_read_b128 v[90:93], v30 offset:64
	;; [unrolled: 1-line block ×8, first 2 shown]
	s_waitcnt lgkmcnt(6)
	;;#ASMSTART
	v_dot2_f32_f16 v82, v86, v90, v82
	;;#ASMEND
	;;#ASMSTART
	v_dot2_f32_f16 v82, v87, v91, v82
	;;#ASMEND
	;;#ASMSTART
	v_dot2_f32_f16 v82, v88, v92, v82
	;;#ASMEND
	;;#ASMSTART
	v_dot2_f32_f16 v82, v89, v93, v82
	;;#ASMEND
	s_waitcnt lgkmcnt(5)
	;;#ASMSTART
	v_dot2_f32_f16 v78, v86, v94, v78
	;;#ASMEND
	;;#ASMSTART
	v_dot2_f32_f16 v78, v87, v95, v78
	;;#ASMEND
	;;#ASMSTART
	v_dot2_f32_f16 v78, v88, v96, v78
	;;#ASMEND
	;;#ASMSTART
	v_dot2_f32_f16 v78, v89, v97, v78
	;;#ASMEND
	;; [unrolled: 13-line block ×5, first 2 shown]
	;;#ASMSTART
	v_dot2_f32_f16 v79, v106, v94, v79
	;;#ASMEND
	;;#ASMSTART
	v_dot2_f32_f16 v79, v107, v95, v79
	;;#ASMEND
	;; [unrolled: 3-line block ×12, first 2 shown]
	s_waitcnt lgkmcnt(1)
	;;#ASMSTART
	v_dot2_f32_f16 v84, v110, v90, v84
	;;#ASMEND
	;;#ASMSTART
	v_dot2_f32_f16 v84, v111, v91, v84
	;;#ASMEND
	;; [unrolled: 3-line block ×16, first 2 shown]
	s_waitcnt lgkmcnt(0)
	;;#ASMSTART
	v_dot2_f32_f16 v85, v114, v90, v85
	;;#ASMEND
	;;#ASMSTART
	v_dot2_f32_f16 v85, v115, v91, v85
	;;#ASMEND
	;; [unrolled: 3-line block ×16, first 2 shown]
	ds_read_b128 v[86:89], v38 offset:80
	ds_read_b128 v[90:93], v30 offset:80
	;; [unrolled: 1-line block ×8, first 2 shown]
	s_waitcnt lgkmcnt(6)
	;;#ASMSTART
	v_dot2_f32_f16 v82, v86, v90, v82
	;;#ASMEND
	;;#ASMSTART
	v_dot2_f32_f16 v82, v87, v91, v82
	;;#ASMEND
	;;#ASMSTART
	v_dot2_f32_f16 v82, v88, v92, v82
	;;#ASMEND
	;;#ASMSTART
	v_dot2_f32_f16 v82, v89, v93, v82
	;;#ASMEND
	s_waitcnt lgkmcnt(5)
	;;#ASMSTART
	v_dot2_f32_f16 v78, v86, v94, v78
	;;#ASMEND
	;;#ASMSTART
	v_dot2_f32_f16 v78, v87, v95, v78
	;;#ASMEND
	;;#ASMSTART
	v_dot2_f32_f16 v78, v88, v96, v78
	;;#ASMEND
	;;#ASMSTART
	v_dot2_f32_f16 v78, v89, v97, v78
	;;#ASMEND
	;; [unrolled: 13-line block ×5, first 2 shown]
	;;#ASMSTART
	v_dot2_f32_f16 v79, v106, v94, v79
	;;#ASMEND
	;;#ASMSTART
	v_dot2_f32_f16 v79, v107, v95, v79
	;;#ASMEND
	;; [unrolled: 3-line block ×12, first 2 shown]
	s_waitcnt lgkmcnt(1)
	;;#ASMSTART
	v_dot2_f32_f16 v84, v110, v90, v84
	;;#ASMEND
	;;#ASMSTART
	v_dot2_f32_f16 v84, v111, v91, v84
	;;#ASMEND
	;; [unrolled: 3-line block ×16, first 2 shown]
	s_waitcnt lgkmcnt(0)
	;;#ASMSTART
	v_dot2_f32_f16 v85, v114, v90, v85
	;;#ASMEND
	;;#ASMSTART
	v_dot2_f32_f16 v85, v115, v91, v85
	;;#ASMEND
	;; [unrolled: 3-line block ×16, first 2 shown]
	ds_read_b128 v[86:89], v38 offset:96
	ds_read_b128 v[90:93], v30 offset:96
	;; [unrolled: 1-line block ×8, first 2 shown]
	s_waitcnt lgkmcnt(6)
	;;#ASMSTART
	v_dot2_f32_f16 v82, v86, v90, v82
	;;#ASMEND
	;;#ASMSTART
	v_dot2_f32_f16 v82, v87, v91, v82
	;;#ASMEND
	;;#ASMSTART
	v_dot2_f32_f16 v82, v88, v92, v82
	;;#ASMEND
	;;#ASMSTART
	v_dot2_f32_f16 v82, v89, v93, v82
	;;#ASMEND
	s_waitcnt lgkmcnt(5)
	;;#ASMSTART
	v_dot2_f32_f16 v78, v86, v94, v78
	;;#ASMEND
	;;#ASMSTART
	v_dot2_f32_f16 v78, v87, v95, v78
	;;#ASMEND
	;;#ASMSTART
	v_dot2_f32_f16 v78, v88, v96, v78
	;;#ASMEND
	;;#ASMSTART
	v_dot2_f32_f16 v78, v89, v97, v78
	;;#ASMEND
	;; [unrolled: 13-line block ×5, first 2 shown]
	;;#ASMSTART
	v_dot2_f32_f16 v79, v106, v94, v79
	;;#ASMEND
	;;#ASMSTART
	v_dot2_f32_f16 v79, v107, v95, v79
	;;#ASMEND
	;; [unrolled: 3-line block ×12, first 2 shown]
	s_waitcnt lgkmcnt(1)
	;;#ASMSTART
	v_dot2_f32_f16 v84, v110, v90, v84
	;;#ASMEND
	;;#ASMSTART
	v_dot2_f32_f16 v84, v111, v91, v84
	;;#ASMEND
	;; [unrolled: 3-line block ×16, first 2 shown]
	s_waitcnt lgkmcnt(0)
	;;#ASMSTART
	v_dot2_f32_f16 v85, v114, v90, v85
	;;#ASMEND
	;;#ASMSTART
	v_dot2_f32_f16 v85, v115, v91, v85
	;;#ASMEND
	;;#ASMSTART
	v_dot2_f32_f16 v85, v116, v92, v85
	;;#ASMEND
	;;#ASMSTART
	v_dot2_f32_f16 v85, v117, v93, v85
	;;#ASMEND
	;;#ASMSTART
	v_dot2_f32_f16 v81, v114, v94, v81
	;;#ASMEND
	;;#ASMSTART
	v_dot2_f32_f16 v81, v115, v95, v81
	;;#ASMEND
	;;#ASMSTART
	v_dot2_f32_f16 v81, v116, v96, v81
	;;#ASMEND
	;;#ASMSTART
	v_dot2_f32_f16 v81, v117, v97, v81
	;;#ASMEND
	;;#ASMSTART
	v_dot2_f32_f16 v77, v114, v98, v77
	;;#ASMEND
	;;#ASMSTART
	v_dot2_f32_f16 v77, v115, v99, v77
	;;#ASMEND
	;;#ASMSTART
	v_dot2_f32_f16 v77, v116, v100, v77
	;;#ASMEND
	;;#ASMSTART
	v_dot2_f32_f16 v77, v117, v101, v77
	;;#ASMEND
	;;#ASMSTART
	v_dot2_f32_f16 v73, v114, v102, v73
	;;#ASMEND
	;;#ASMSTART
	v_dot2_f32_f16 v73, v115, v103, v73
	;;#ASMEND
	;;#ASMSTART
	v_dot2_f32_f16 v73, v116, v104, v73
	;;#ASMEND
	;;#ASMSTART
	v_dot2_f32_f16 v73, v117, v105, v73
	;;#ASMEND
	ds_read_b128 v[86:89], v38 offset:112
	ds_read_b128 v[90:93], v30 offset:112
	;; [unrolled: 1-line block ×8, first 2 shown]
	s_waitcnt lgkmcnt(6)
	;;#ASMSTART
	v_dot2_f32_f16 v82, v86, v90, v82
	;;#ASMEND
	;;#ASMSTART
	v_dot2_f32_f16 v82, v87, v91, v82
	;;#ASMEND
	;;#ASMSTART
	v_dot2_f32_f16 v82, v88, v92, v82
	;;#ASMEND
	;;#ASMSTART
	v_dot2_f32_f16 v82, v89, v93, v82
	;;#ASMEND
	s_waitcnt lgkmcnt(5)
	;;#ASMSTART
	v_dot2_f32_f16 v78, v86, v94, v78
	;;#ASMEND
	;;#ASMSTART
	v_dot2_f32_f16 v78, v87, v95, v78
	;;#ASMEND
	;;#ASMSTART
	v_dot2_f32_f16 v78, v88, v96, v78
	;;#ASMEND
	;;#ASMSTART
	v_dot2_f32_f16 v78, v89, v97, v78
	;;#ASMEND
	;; [unrolled: 13-line block ×5, first 2 shown]
	;;#ASMSTART
	v_dot2_f32_f16 v79, v106, v94, v79
	;;#ASMEND
	;;#ASMSTART
	v_dot2_f32_f16 v79, v107, v95, v79
	;;#ASMEND
	;;#ASMSTART
	v_dot2_f32_f16 v79, v108, v96, v79
	;;#ASMEND
	;;#ASMSTART
	v_dot2_f32_f16 v79, v109, v97, v79
	;;#ASMEND
	;;#ASMSTART
	v_dot2_f32_f16 v75, v106, v98, v75
	;;#ASMEND
	;;#ASMSTART
	v_dot2_f32_f16 v75, v107, v99, v75
	;;#ASMEND
	;;#ASMSTART
	v_dot2_f32_f16 v75, v108, v100, v75
	;;#ASMEND
	;;#ASMSTART
	v_dot2_f32_f16 v75, v109, v101, v75
	;;#ASMEND
	;;#ASMSTART
	v_dot2_f32_f16 v71, v106, v102, v71
	;;#ASMEND
	;;#ASMSTART
	v_dot2_f32_f16 v71, v107, v103, v71
	;;#ASMEND
	;;#ASMSTART
	v_dot2_f32_f16 v71, v108, v104, v71
	;;#ASMEND
	;;#ASMSTART
	v_dot2_f32_f16 v71, v109, v105, v71
	;;#ASMEND
	s_waitcnt lgkmcnt(1)
	;;#ASMSTART
	v_dot2_f32_f16 v84, v110, v90, v84
	;;#ASMEND
	;;#ASMSTART
	v_dot2_f32_f16 v84, v111, v91, v84
	;;#ASMEND
	;; [unrolled: 3-line block ×16, first 2 shown]
	s_waitcnt lgkmcnt(0)
	;;#ASMSTART
	v_dot2_f32_f16 v85, v114, v90, v85
	;;#ASMEND
	;;#ASMSTART
	v_dot2_f32_f16 v85, v115, v91, v85
	;;#ASMEND
	;;#ASMSTART
	v_dot2_f32_f16 v85, v116, v92, v85
	;;#ASMEND
	;;#ASMSTART
	v_dot2_f32_f16 v85, v117, v93, v85
	;;#ASMEND
	;;#ASMSTART
	v_dot2_f32_f16 v81, v114, v94, v81
	;;#ASMEND
	;;#ASMSTART
	v_dot2_f32_f16 v81, v115, v95, v81
	;;#ASMEND
	;;#ASMSTART
	v_dot2_f32_f16 v81, v116, v96, v81
	;;#ASMEND
	;;#ASMSTART
	v_dot2_f32_f16 v81, v117, v97, v81
	;;#ASMEND
	;;#ASMSTART
	v_dot2_f32_f16 v77, v114, v98, v77
	;;#ASMEND
	;;#ASMSTART
	v_dot2_f32_f16 v77, v115, v99, v77
	;;#ASMEND
	;;#ASMSTART
	v_dot2_f32_f16 v77, v116, v100, v77
	;;#ASMEND
	;;#ASMSTART
	v_dot2_f32_f16 v77, v117, v101, v77
	;;#ASMEND
	;;#ASMSTART
	v_dot2_f32_f16 v73, v114, v102, v73
	;;#ASMEND
	;;#ASMSTART
	v_dot2_f32_f16 v73, v115, v103, v73
	;;#ASMEND
	;;#ASMSTART
	v_dot2_f32_f16 v73, v116, v104, v73
	;;#ASMEND
	;;#ASMSTART
	v_dot2_f32_f16 v73, v117, v105, v73
	;;#ASMEND
	s_barrier
	buffer_gl0_inv
	s_clause 0x3
	global_load_dwordx4 v[86:89], v[1:2], off offset:128
	global_load_dwordx4 v[90:93], v[3:4], off offset:128
	;; [unrolled: 1-line block ×4, first 2 shown]
	s_waitcnt vmcnt(3)
	ds_write_b128 v33, v[86:89]
	s_waitcnt vmcnt(2)
	ds_write_b128 v34, v[90:93]
	;; [unrolled: 2-line block ×4, first 2 shown]
	s_waitcnt lgkmcnt(0)
	s_barrier
	buffer_gl0_inv
	ds_read_b128 v[86:89], v38
	ds_read_b128 v[90:93], v30 offset:128
	ds_read_b128 v[94:97], v30 offset:768
	;; [unrolled: 1-line block ×7, first 2 shown]
	s_waitcnt lgkmcnt(6)
	;;#ASMSTART
	v_dot2_f32_f16 v82, v86, v90, v82
	;;#ASMEND
	;;#ASMSTART
	v_dot2_f32_f16 v82, v87, v91, v82
	;;#ASMEND
	;;#ASMSTART
	v_dot2_f32_f16 v82, v88, v92, v82
	;;#ASMEND
	;;#ASMSTART
	v_dot2_f32_f16 v82, v89, v93, v82
	;;#ASMEND
	s_waitcnt lgkmcnt(5)
	;;#ASMSTART
	v_dot2_f32_f16 v78, v86, v94, v78
	;;#ASMEND
	;;#ASMSTART
	v_dot2_f32_f16 v78, v87, v95, v78
	;;#ASMEND
	;;#ASMSTART
	v_dot2_f32_f16 v78, v88, v96, v78
	;;#ASMEND
	;;#ASMSTART
	v_dot2_f32_f16 v78, v89, v97, v78
	;;#ASMEND
	;; [unrolled: 13-line block ×5, first 2 shown]
	;;#ASMSTART
	v_dot2_f32_f16 v79, v106, v94, v79
	;;#ASMEND
	;;#ASMSTART
	v_dot2_f32_f16 v79, v107, v95, v79
	;;#ASMEND
	;; [unrolled: 3-line block ×12, first 2 shown]
	s_waitcnt lgkmcnt(1)
	;;#ASMSTART
	v_dot2_f32_f16 v84, v110, v90, v84
	;;#ASMEND
	;;#ASMSTART
	v_dot2_f32_f16 v84, v111, v91, v84
	;;#ASMEND
	;; [unrolled: 3-line block ×16, first 2 shown]
	s_waitcnt lgkmcnt(0)
	;;#ASMSTART
	v_dot2_f32_f16 v85, v114, v90, v85
	;;#ASMEND
	;;#ASMSTART
	v_dot2_f32_f16 v85, v115, v91, v85
	;;#ASMEND
	;; [unrolled: 3-line block ×16, first 2 shown]
	ds_read_b128 v[86:89], v38 offset:16
	ds_read_b128 v[90:93], v30 offset:144
	;; [unrolled: 1-line block ×8, first 2 shown]
	s_waitcnt lgkmcnt(6)
	;;#ASMSTART
	v_dot2_f32_f16 v82, v86, v90, v82
	;;#ASMEND
	;;#ASMSTART
	v_dot2_f32_f16 v82, v87, v91, v82
	;;#ASMEND
	;;#ASMSTART
	v_dot2_f32_f16 v82, v88, v92, v82
	;;#ASMEND
	;;#ASMSTART
	v_dot2_f32_f16 v82, v89, v93, v82
	;;#ASMEND
	s_waitcnt lgkmcnt(5)
	;;#ASMSTART
	v_dot2_f32_f16 v78, v86, v94, v78
	;;#ASMEND
	;;#ASMSTART
	v_dot2_f32_f16 v78, v87, v95, v78
	;;#ASMEND
	;;#ASMSTART
	v_dot2_f32_f16 v78, v88, v96, v78
	;;#ASMEND
	;;#ASMSTART
	v_dot2_f32_f16 v78, v89, v97, v78
	;;#ASMEND
	s_waitcnt lgkmcnt(4)
	;;#ASMSTART
	v_dot2_f32_f16 v74, v86, v98, v74
	;;#ASMEND
	;;#ASMSTART
	v_dot2_f32_f16 v74, v87, v99, v74
	;;#ASMEND
	;;#ASMSTART
	v_dot2_f32_f16 v74, v88, v100, v74
	;;#ASMEND
	;;#ASMSTART
	v_dot2_f32_f16 v74, v89, v101, v74
	;;#ASMEND
	s_waitcnt lgkmcnt(3)
	;;#ASMSTART
	v_dot2_f32_f16 v70, v86, v102, v70
	;;#ASMEND
	;;#ASMSTART
	v_dot2_f32_f16 v70, v87, v103, v70
	;;#ASMEND
	;;#ASMSTART
	v_dot2_f32_f16 v70, v88, v104, v70
	;;#ASMEND
	;;#ASMSTART
	v_dot2_f32_f16 v70, v89, v105, v70
	;;#ASMEND
	s_waitcnt lgkmcnt(2)
	;;#ASMSTART
	v_dot2_f32_f16 v83, v106, v90, v83
	;;#ASMEND
	;;#ASMSTART
	v_dot2_f32_f16 v83, v107, v91, v83
	;;#ASMEND
	;;#ASMSTART
	v_dot2_f32_f16 v83, v108, v92, v83
	;;#ASMEND
	;;#ASMSTART
	v_dot2_f32_f16 v83, v109, v93, v83
	;;#ASMEND
	;;#ASMSTART
	v_dot2_f32_f16 v79, v106, v94, v79
	;;#ASMEND
	;;#ASMSTART
	v_dot2_f32_f16 v79, v107, v95, v79
	;;#ASMEND
	;; [unrolled: 3-line block ×12, first 2 shown]
	s_waitcnt lgkmcnt(1)
	;;#ASMSTART
	v_dot2_f32_f16 v84, v110, v90, v84
	;;#ASMEND
	;;#ASMSTART
	v_dot2_f32_f16 v84, v111, v91, v84
	;;#ASMEND
	;; [unrolled: 3-line block ×16, first 2 shown]
	s_waitcnt lgkmcnt(0)
	;;#ASMSTART
	v_dot2_f32_f16 v85, v114, v90, v85
	;;#ASMEND
	;;#ASMSTART
	v_dot2_f32_f16 v85, v115, v91, v85
	;;#ASMEND
	;; [unrolled: 3-line block ×16, first 2 shown]
	ds_read_b128 v[86:89], v38 offset:32
	ds_read_b128 v[90:93], v30 offset:160
	;; [unrolled: 1-line block ×8, first 2 shown]
	s_waitcnt lgkmcnt(6)
	;;#ASMSTART
	v_dot2_f32_f16 v82, v86, v90, v82
	;;#ASMEND
	;;#ASMSTART
	v_dot2_f32_f16 v82, v87, v91, v82
	;;#ASMEND
	;;#ASMSTART
	v_dot2_f32_f16 v82, v88, v92, v82
	;;#ASMEND
	;;#ASMSTART
	v_dot2_f32_f16 v82, v89, v93, v82
	;;#ASMEND
	s_waitcnt lgkmcnt(5)
	;;#ASMSTART
	v_dot2_f32_f16 v78, v86, v94, v78
	;;#ASMEND
	;;#ASMSTART
	v_dot2_f32_f16 v78, v87, v95, v78
	;;#ASMEND
	;;#ASMSTART
	v_dot2_f32_f16 v78, v88, v96, v78
	;;#ASMEND
	;;#ASMSTART
	v_dot2_f32_f16 v78, v89, v97, v78
	;;#ASMEND
	;; [unrolled: 13-line block ×5, first 2 shown]
	;;#ASMSTART
	v_dot2_f32_f16 v79, v106, v94, v79
	;;#ASMEND
	;;#ASMSTART
	v_dot2_f32_f16 v79, v107, v95, v79
	;;#ASMEND
	;; [unrolled: 3-line block ×12, first 2 shown]
	s_waitcnt lgkmcnt(1)
	;;#ASMSTART
	v_dot2_f32_f16 v84, v110, v90, v84
	;;#ASMEND
	;;#ASMSTART
	v_dot2_f32_f16 v84, v111, v91, v84
	;;#ASMEND
	;; [unrolled: 3-line block ×16, first 2 shown]
	s_waitcnt lgkmcnt(0)
	;;#ASMSTART
	v_dot2_f32_f16 v85, v114, v90, v85
	;;#ASMEND
	;;#ASMSTART
	v_dot2_f32_f16 v85, v115, v91, v85
	;;#ASMEND
	;; [unrolled: 3-line block ×16, first 2 shown]
	ds_read_b128 v[86:89], v38 offset:48
	ds_read_b128 v[90:93], v30 offset:176
	;; [unrolled: 1-line block ×8, first 2 shown]
	s_waitcnt lgkmcnt(6)
	;;#ASMSTART
	v_dot2_f32_f16 v82, v86, v90, v82
	;;#ASMEND
	;;#ASMSTART
	v_dot2_f32_f16 v82, v87, v91, v82
	;;#ASMEND
	;;#ASMSTART
	v_dot2_f32_f16 v82, v88, v92, v82
	;;#ASMEND
	;;#ASMSTART
	v_dot2_f32_f16 v82, v89, v93, v82
	;;#ASMEND
	s_waitcnt lgkmcnt(5)
	;;#ASMSTART
	v_dot2_f32_f16 v78, v86, v94, v78
	;;#ASMEND
	;;#ASMSTART
	v_dot2_f32_f16 v78, v87, v95, v78
	;;#ASMEND
	;;#ASMSTART
	v_dot2_f32_f16 v78, v88, v96, v78
	;;#ASMEND
	;;#ASMSTART
	v_dot2_f32_f16 v78, v89, v97, v78
	;;#ASMEND
	;; [unrolled: 13-line block ×5, first 2 shown]
	;;#ASMSTART
	v_dot2_f32_f16 v79, v106, v94, v79
	;;#ASMEND
	;;#ASMSTART
	v_dot2_f32_f16 v79, v107, v95, v79
	;;#ASMEND
	;;#ASMSTART
	v_dot2_f32_f16 v79, v108, v96, v79
	;;#ASMEND
	;;#ASMSTART
	v_dot2_f32_f16 v79, v109, v97, v79
	;;#ASMEND
	;;#ASMSTART
	v_dot2_f32_f16 v75, v106, v98, v75
	;;#ASMEND
	;;#ASMSTART
	v_dot2_f32_f16 v75, v107, v99, v75
	;;#ASMEND
	;;#ASMSTART
	v_dot2_f32_f16 v75, v108, v100, v75
	;;#ASMEND
	;;#ASMSTART
	v_dot2_f32_f16 v75, v109, v101, v75
	;;#ASMEND
	;;#ASMSTART
	v_dot2_f32_f16 v71, v106, v102, v71
	;;#ASMEND
	;;#ASMSTART
	v_dot2_f32_f16 v71, v107, v103, v71
	;;#ASMEND
	;;#ASMSTART
	v_dot2_f32_f16 v71, v108, v104, v71
	;;#ASMEND
	;;#ASMSTART
	v_dot2_f32_f16 v71, v109, v105, v71
	;;#ASMEND
	s_waitcnt lgkmcnt(1)
	;;#ASMSTART
	v_dot2_f32_f16 v84, v110, v90, v84
	;;#ASMEND
	;;#ASMSTART
	v_dot2_f32_f16 v84, v111, v91, v84
	;;#ASMEND
	;; [unrolled: 3-line block ×16, first 2 shown]
	s_waitcnt lgkmcnt(0)
	;;#ASMSTART
	v_dot2_f32_f16 v85, v114, v90, v85
	;;#ASMEND
	;;#ASMSTART
	v_dot2_f32_f16 v85, v115, v91, v85
	;;#ASMEND
	;; [unrolled: 3-line block ×16, first 2 shown]
	ds_read_b128 v[86:89], v38 offset:64
	ds_read_b128 v[90:93], v30 offset:192
	;; [unrolled: 1-line block ×8, first 2 shown]
	s_waitcnt lgkmcnt(6)
	;;#ASMSTART
	v_dot2_f32_f16 v82, v86, v90, v82
	;;#ASMEND
	;;#ASMSTART
	v_dot2_f32_f16 v82, v87, v91, v82
	;;#ASMEND
	;;#ASMSTART
	v_dot2_f32_f16 v82, v88, v92, v82
	;;#ASMEND
	;;#ASMSTART
	v_dot2_f32_f16 v82, v89, v93, v82
	;;#ASMEND
	s_waitcnt lgkmcnt(5)
	;;#ASMSTART
	v_dot2_f32_f16 v78, v86, v94, v78
	;;#ASMEND
	;;#ASMSTART
	v_dot2_f32_f16 v78, v87, v95, v78
	;;#ASMEND
	;;#ASMSTART
	v_dot2_f32_f16 v78, v88, v96, v78
	;;#ASMEND
	;;#ASMSTART
	v_dot2_f32_f16 v78, v89, v97, v78
	;;#ASMEND
	;; [unrolled: 13-line block ×5, first 2 shown]
	;;#ASMSTART
	v_dot2_f32_f16 v79, v106, v94, v79
	;;#ASMEND
	;;#ASMSTART
	v_dot2_f32_f16 v79, v107, v95, v79
	;;#ASMEND
	;; [unrolled: 3-line block ×12, first 2 shown]
	s_waitcnt lgkmcnt(1)
	;;#ASMSTART
	v_dot2_f32_f16 v84, v110, v90, v84
	;;#ASMEND
	;;#ASMSTART
	v_dot2_f32_f16 v84, v111, v91, v84
	;;#ASMEND
	;; [unrolled: 3-line block ×16, first 2 shown]
	s_waitcnt lgkmcnt(0)
	;;#ASMSTART
	v_dot2_f32_f16 v85, v114, v90, v85
	;;#ASMEND
	;;#ASMSTART
	v_dot2_f32_f16 v85, v115, v91, v85
	;;#ASMEND
	;; [unrolled: 3-line block ×16, first 2 shown]
	ds_read_b128 v[86:89], v38 offset:80
	ds_read_b128 v[90:93], v30 offset:208
	;; [unrolled: 1-line block ×8, first 2 shown]
	s_waitcnt lgkmcnt(6)
	;;#ASMSTART
	v_dot2_f32_f16 v82, v86, v90, v82
	;;#ASMEND
	;;#ASMSTART
	v_dot2_f32_f16 v82, v87, v91, v82
	;;#ASMEND
	;;#ASMSTART
	v_dot2_f32_f16 v82, v88, v92, v82
	;;#ASMEND
	;;#ASMSTART
	v_dot2_f32_f16 v82, v89, v93, v82
	;;#ASMEND
	s_waitcnt lgkmcnt(5)
	;;#ASMSTART
	v_dot2_f32_f16 v78, v86, v94, v78
	;;#ASMEND
	;;#ASMSTART
	v_dot2_f32_f16 v78, v87, v95, v78
	;;#ASMEND
	;;#ASMSTART
	v_dot2_f32_f16 v78, v88, v96, v78
	;;#ASMEND
	;;#ASMSTART
	v_dot2_f32_f16 v78, v89, v97, v78
	;;#ASMEND
	;; [unrolled: 13-line block ×5, first 2 shown]
	;;#ASMSTART
	v_dot2_f32_f16 v79, v106, v94, v79
	;;#ASMEND
	;;#ASMSTART
	v_dot2_f32_f16 v79, v107, v95, v79
	;;#ASMEND
	;; [unrolled: 3-line block ×12, first 2 shown]
	s_waitcnt lgkmcnt(1)
	;;#ASMSTART
	v_dot2_f32_f16 v84, v110, v90, v84
	;;#ASMEND
	;;#ASMSTART
	v_dot2_f32_f16 v84, v111, v91, v84
	;;#ASMEND
	;; [unrolled: 3-line block ×16, first 2 shown]
	s_waitcnt lgkmcnt(0)
	;;#ASMSTART
	v_dot2_f32_f16 v85, v114, v90, v85
	;;#ASMEND
	;;#ASMSTART
	v_dot2_f32_f16 v85, v115, v91, v85
	;;#ASMEND
	;; [unrolled: 3-line block ×16, first 2 shown]
	ds_read_b128 v[86:89], v38 offset:96
	ds_read_b128 v[90:93], v30 offset:224
	;; [unrolled: 1-line block ×8, first 2 shown]
	s_waitcnt lgkmcnt(6)
	;;#ASMSTART
	v_dot2_f32_f16 v82, v86, v90, v82
	;;#ASMEND
	;;#ASMSTART
	v_dot2_f32_f16 v82, v87, v91, v82
	;;#ASMEND
	;;#ASMSTART
	v_dot2_f32_f16 v82, v88, v92, v82
	;;#ASMEND
	;;#ASMSTART
	v_dot2_f32_f16 v82, v89, v93, v82
	;;#ASMEND
	s_waitcnt lgkmcnt(5)
	;;#ASMSTART
	v_dot2_f32_f16 v78, v86, v94, v78
	;;#ASMEND
	;;#ASMSTART
	v_dot2_f32_f16 v78, v87, v95, v78
	;;#ASMEND
	;;#ASMSTART
	v_dot2_f32_f16 v78, v88, v96, v78
	;;#ASMEND
	;;#ASMSTART
	v_dot2_f32_f16 v78, v89, v97, v78
	;;#ASMEND
	;; [unrolled: 13-line block ×5, first 2 shown]
	;;#ASMSTART
	v_dot2_f32_f16 v79, v106, v94, v79
	;;#ASMEND
	;;#ASMSTART
	v_dot2_f32_f16 v79, v107, v95, v79
	;;#ASMEND
	;; [unrolled: 3-line block ×12, first 2 shown]
	s_waitcnt lgkmcnt(1)
	;;#ASMSTART
	v_dot2_f32_f16 v84, v110, v90, v84
	;;#ASMEND
	;;#ASMSTART
	v_dot2_f32_f16 v84, v111, v91, v84
	;;#ASMEND
	;; [unrolled: 3-line block ×16, first 2 shown]
	s_waitcnt lgkmcnt(0)
	;;#ASMSTART
	v_dot2_f32_f16 v85, v114, v90, v85
	;;#ASMEND
	;;#ASMSTART
	v_dot2_f32_f16 v85, v115, v91, v85
	;;#ASMEND
	;; [unrolled: 3-line block ×16, first 2 shown]
	ds_read_b128 v[86:89], v38 offset:112
	ds_read_b128 v[90:93], v30 offset:240
	;; [unrolled: 1-line block ×8, first 2 shown]
	s_waitcnt lgkmcnt(6)
	;;#ASMSTART
	v_dot2_f32_f16 v82, v86, v90, v82
	;;#ASMEND
	;;#ASMSTART
	v_dot2_f32_f16 v82, v87, v91, v82
	;;#ASMEND
	;;#ASMSTART
	v_dot2_f32_f16 v82, v88, v92, v82
	;;#ASMEND
	;;#ASMSTART
	v_dot2_f32_f16 v82, v89, v93, v82
	;;#ASMEND
	s_waitcnt lgkmcnt(5)
	;;#ASMSTART
	v_dot2_f32_f16 v78, v86, v94, v78
	;;#ASMEND
	;;#ASMSTART
	v_dot2_f32_f16 v78, v87, v95, v78
	;;#ASMEND
	;;#ASMSTART
	v_dot2_f32_f16 v78, v88, v96, v78
	;;#ASMEND
	;;#ASMSTART
	v_dot2_f32_f16 v78, v89, v97, v78
	;;#ASMEND
	;; [unrolled: 13-line block ×5, first 2 shown]
	;;#ASMSTART
	v_dot2_f32_f16 v79, v106, v94, v79
	;;#ASMEND
	;;#ASMSTART
	v_dot2_f32_f16 v79, v107, v95, v79
	;;#ASMEND
	;; [unrolled: 3-line block ×12, first 2 shown]
	s_waitcnt lgkmcnt(1)
	;;#ASMSTART
	v_dot2_f32_f16 v84, v110, v90, v84
	;;#ASMEND
	;;#ASMSTART
	v_dot2_f32_f16 v84, v111, v91, v84
	;;#ASMEND
	;; [unrolled: 3-line block ×16, first 2 shown]
	s_waitcnt lgkmcnt(0)
	;;#ASMSTART
	v_dot2_f32_f16 v85, v114, v90, v85
	;;#ASMEND
	;;#ASMSTART
	v_dot2_f32_f16 v85, v115, v91, v85
	;;#ASMEND
	;; [unrolled: 3-line block ×16, first 2 shown]
	s_barrier
	buffer_gl0_inv
	s_clause 0x3
	global_load_dwordx4 v[86:89], v[1:2], off offset:256
	global_load_dwordx4 v[90:93], v[3:4], off offset:256
	;; [unrolled: 1-line block ×4, first 2 shown]
	s_waitcnt vmcnt(3)
	ds_write_b128 v33, v[86:89]
	s_waitcnt vmcnt(2)
	ds_write_b128 v34, v[90:93]
	;; [unrolled: 2-line block ×4, first 2 shown]
	s_waitcnt lgkmcnt(0)
	s_barrier
	buffer_gl0_inv
	ds_read_b128 v[86:89], v38
	ds_read_b128 v[90:93], v30 offset:256
	ds_read_b128 v[94:97], v30 offset:896
	;; [unrolled: 1-line block ×7, first 2 shown]
	s_waitcnt lgkmcnt(6)
	;;#ASMSTART
	v_dot2_f32_f16 v82, v86, v90, v82
	;;#ASMEND
	;;#ASMSTART
	v_dot2_f32_f16 v82, v87, v91, v82
	;;#ASMEND
	;;#ASMSTART
	v_dot2_f32_f16 v82, v88, v92, v82
	;;#ASMEND
	;;#ASMSTART
	v_dot2_f32_f16 v82, v89, v93, v82
	;;#ASMEND
	s_waitcnt lgkmcnt(5)
	;;#ASMSTART
	v_dot2_f32_f16 v78, v86, v94, v78
	;;#ASMEND
	;;#ASMSTART
	v_dot2_f32_f16 v78, v87, v95, v78
	;;#ASMEND
	;;#ASMSTART
	v_dot2_f32_f16 v78, v88, v96, v78
	;;#ASMEND
	;;#ASMSTART
	v_dot2_f32_f16 v78, v89, v97, v78
	;;#ASMEND
	;; [unrolled: 13-line block ×5, first 2 shown]
	;;#ASMSTART
	v_dot2_f32_f16 v79, v106, v94, v79
	;;#ASMEND
	;;#ASMSTART
	v_dot2_f32_f16 v79, v107, v95, v79
	;;#ASMEND
	;; [unrolled: 3-line block ×12, first 2 shown]
	s_waitcnt lgkmcnt(1)
	;;#ASMSTART
	v_dot2_f32_f16 v84, v110, v90, v84
	;;#ASMEND
	;;#ASMSTART
	v_dot2_f32_f16 v84, v111, v91, v84
	;;#ASMEND
	;;#ASMSTART
	v_dot2_f32_f16 v84, v112, v92, v84
	;;#ASMEND
	;;#ASMSTART
	v_dot2_f32_f16 v84, v113, v93, v84
	;;#ASMEND
	;;#ASMSTART
	v_dot2_f32_f16 v80, v110, v94, v80
	;;#ASMEND
	;;#ASMSTART
	v_dot2_f32_f16 v80, v111, v95, v80
	;;#ASMEND
	;;#ASMSTART
	v_dot2_f32_f16 v80, v112, v96, v80
	;;#ASMEND
	;;#ASMSTART
	v_dot2_f32_f16 v80, v113, v97, v80
	;;#ASMEND
	;;#ASMSTART
	v_dot2_f32_f16 v76, v110, v98, v76
	;;#ASMEND
	;;#ASMSTART
	v_dot2_f32_f16 v76, v111, v99, v76
	;;#ASMEND
	;;#ASMSTART
	v_dot2_f32_f16 v76, v112, v100, v76
	;;#ASMEND
	;;#ASMSTART
	v_dot2_f32_f16 v76, v113, v101, v76
	;;#ASMEND
	;;#ASMSTART
	v_dot2_f32_f16 v72, v110, v102, v72
	;;#ASMEND
	;;#ASMSTART
	v_dot2_f32_f16 v72, v111, v103, v72
	;;#ASMEND
	;;#ASMSTART
	v_dot2_f32_f16 v72, v112, v104, v72
	;;#ASMEND
	;;#ASMSTART
	v_dot2_f32_f16 v72, v113, v105, v72
	;;#ASMEND
	s_waitcnt lgkmcnt(0)
	;;#ASMSTART
	v_dot2_f32_f16 v85, v114, v90, v85
	;;#ASMEND
	;;#ASMSTART
	v_dot2_f32_f16 v85, v115, v91, v85
	;;#ASMEND
	;; [unrolled: 3-line block ×16, first 2 shown]
	ds_read_b128 v[86:89], v38 offset:16
	ds_read_b128 v[90:93], v30 offset:272
	;; [unrolled: 1-line block ×8, first 2 shown]
	s_waitcnt lgkmcnt(6)
	;;#ASMSTART
	v_dot2_f32_f16 v82, v86, v90, v82
	;;#ASMEND
	;;#ASMSTART
	v_dot2_f32_f16 v82, v87, v91, v82
	;;#ASMEND
	;;#ASMSTART
	v_dot2_f32_f16 v82, v88, v92, v82
	;;#ASMEND
	;;#ASMSTART
	v_dot2_f32_f16 v82, v89, v93, v82
	;;#ASMEND
	s_waitcnt lgkmcnt(5)
	;;#ASMSTART
	v_dot2_f32_f16 v78, v86, v94, v78
	;;#ASMEND
	;;#ASMSTART
	v_dot2_f32_f16 v78, v87, v95, v78
	;;#ASMEND
	;;#ASMSTART
	v_dot2_f32_f16 v78, v88, v96, v78
	;;#ASMEND
	;;#ASMSTART
	v_dot2_f32_f16 v78, v89, v97, v78
	;;#ASMEND
	;; [unrolled: 13-line block ×5, first 2 shown]
	;;#ASMSTART
	v_dot2_f32_f16 v79, v106, v94, v79
	;;#ASMEND
	;;#ASMSTART
	v_dot2_f32_f16 v79, v107, v95, v79
	;;#ASMEND
	;; [unrolled: 3-line block ×12, first 2 shown]
	s_waitcnt lgkmcnt(1)
	;;#ASMSTART
	v_dot2_f32_f16 v84, v110, v90, v84
	;;#ASMEND
	;;#ASMSTART
	v_dot2_f32_f16 v84, v111, v91, v84
	;;#ASMEND
	;; [unrolled: 3-line block ×16, first 2 shown]
	s_waitcnt lgkmcnt(0)
	;;#ASMSTART
	v_dot2_f32_f16 v85, v114, v90, v85
	;;#ASMEND
	;;#ASMSTART
	v_dot2_f32_f16 v85, v115, v91, v85
	;;#ASMEND
	;; [unrolled: 3-line block ×16, first 2 shown]
	ds_read_b128 v[86:89], v38 offset:32
	ds_read_b128 v[90:93], v30 offset:288
	;; [unrolled: 1-line block ×8, first 2 shown]
	s_waitcnt lgkmcnt(6)
	;;#ASMSTART
	v_dot2_f32_f16 v82, v86, v90, v82
	;;#ASMEND
	;;#ASMSTART
	v_dot2_f32_f16 v82, v87, v91, v82
	;;#ASMEND
	;;#ASMSTART
	v_dot2_f32_f16 v82, v88, v92, v82
	;;#ASMEND
	;;#ASMSTART
	v_dot2_f32_f16 v82, v89, v93, v82
	;;#ASMEND
	s_waitcnt lgkmcnt(5)
	;;#ASMSTART
	v_dot2_f32_f16 v78, v86, v94, v78
	;;#ASMEND
	;;#ASMSTART
	v_dot2_f32_f16 v78, v87, v95, v78
	;;#ASMEND
	;;#ASMSTART
	v_dot2_f32_f16 v78, v88, v96, v78
	;;#ASMEND
	;;#ASMSTART
	v_dot2_f32_f16 v78, v89, v97, v78
	;;#ASMEND
	s_waitcnt lgkmcnt(4)
	;;#ASMSTART
	v_dot2_f32_f16 v74, v86, v98, v74
	;;#ASMEND
	;;#ASMSTART
	v_dot2_f32_f16 v74, v87, v99, v74
	;;#ASMEND
	;;#ASMSTART
	v_dot2_f32_f16 v74, v88, v100, v74
	;;#ASMEND
	;;#ASMSTART
	v_dot2_f32_f16 v74, v89, v101, v74
	;;#ASMEND
	s_waitcnt lgkmcnt(3)
	;;#ASMSTART
	v_dot2_f32_f16 v70, v86, v102, v70
	;;#ASMEND
	;;#ASMSTART
	v_dot2_f32_f16 v70, v87, v103, v70
	;;#ASMEND
	;;#ASMSTART
	v_dot2_f32_f16 v70, v88, v104, v70
	;;#ASMEND
	;;#ASMSTART
	v_dot2_f32_f16 v70, v89, v105, v70
	;;#ASMEND
	s_waitcnt lgkmcnt(2)
	;;#ASMSTART
	v_dot2_f32_f16 v83, v106, v90, v83
	;;#ASMEND
	;;#ASMSTART
	v_dot2_f32_f16 v83, v107, v91, v83
	;;#ASMEND
	;;#ASMSTART
	v_dot2_f32_f16 v83, v108, v92, v83
	;;#ASMEND
	;;#ASMSTART
	v_dot2_f32_f16 v83, v109, v93, v83
	;;#ASMEND
	;;#ASMSTART
	v_dot2_f32_f16 v79, v106, v94, v79
	;;#ASMEND
	;;#ASMSTART
	v_dot2_f32_f16 v79, v107, v95, v79
	;;#ASMEND
	;; [unrolled: 3-line block ×12, first 2 shown]
	s_waitcnt lgkmcnt(1)
	;;#ASMSTART
	v_dot2_f32_f16 v84, v110, v90, v84
	;;#ASMEND
	;;#ASMSTART
	v_dot2_f32_f16 v84, v111, v91, v84
	;;#ASMEND
	;;#ASMSTART
	v_dot2_f32_f16 v84, v112, v92, v84
	;;#ASMEND
	;;#ASMSTART
	v_dot2_f32_f16 v84, v113, v93, v84
	;;#ASMEND
	;;#ASMSTART
	v_dot2_f32_f16 v80, v110, v94, v80
	;;#ASMEND
	;;#ASMSTART
	v_dot2_f32_f16 v80, v111, v95, v80
	;;#ASMEND
	;;#ASMSTART
	v_dot2_f32_f16 v80, v112, v96, v80
	;;#ASMEND
	;;#ASMSTART
	v_dot2_f32_f16 v80, v113, v97, v80
	;;#ASMEND
	;;#ASMSTART
	v_dot2_f32_f16 v76, v110, v98, v76
	;;#ASMEND
	;;#ASMSTART
	v_dot2_f32_f16 v76, v111, v99, v76
	;;#ASMEND
	;;#ASMSTART
	v_dot2_f32_f16 v76, v112, v100, v76
	;;#ASMEND
	;;#ASMSTART
	v_dot2_f32_f16 v76, v113, v101, v76
	;;#ASMEND
	;;#ASMSTART
	v_dot2_f32_f16 v72, v110, v102, v72
	;;#ASMEND
	;;#ASMSTART
	v_dot2_f32_f16 v72, v111, v103, v72
	;;#ASMEND
	;;#ASMSTART
	v_dot2_f32_f16 v72, v112, v104, v72
	;;#ASMEND
	;;#ASMSTART
	v_dot2_f32_f16 v72, v113, v105, v72
	;;#ASMEND
	s_waitcnt lgkmcnt(0)
	;;#ASMSTART
	v_dot2_f32_f16 v85, v114, v90, v85
	;;#ASMEND
	;;#ASMSTART
	v_dot2_f32_f16 v85, v115, v91, v85
	;;#ASMEND
	;; [unrolled: 3-line block ×16, first 2 shown]
	ds_read_b128 v[86:89], v38 offset:48
	ds_read_b128 v[90:93], v30 offset:304
	;; [unrolled: 1-line block ×8, first 2 shown]
	s_waitcnt lgkmcnt(6)
	;;#ASMSTART
	v_dot2_f32_f16 v82, v86, v90, v82
	;;#ASMEND
	;;#ASMSTART
	v_dot2_f32_f16 v82, v87, v91, v82
	;;#ASMEND
	;;#ASMSTART
	v_dot2_f32_f16 v82, v88, v92, v82
	;;#ASMEND
	;;#ASMSTART
	v_dot2_f32_f16 v82, v89, v93, v82
	;;#ASMEND
	s_waitcnt lgkmcnt(5)
	;;#ASMSTART
	v_dot2_f32_f16 v78, v86, v94, v78
	;;#ASMEND
	;;#ASMSTART
	v_dot2_f32_f16 v78, v87, v95, v78
	;;#ASMEND
	;;#ASMSTART
	v_dot2_f32_f16 v78, v88, v96, v78
	;;#ASMEND
	;;#ASMSTART
	v_dot2_f32_f16 v78, v89, v97, v78
	;;#ASMEND
	;; [unrolled: 13-line block ×5, first 2 shown]
	;;#ASMSTART
	v_dot2_f32_f16 v79, v106, v94, v79
	;;#ASMEND
	;;#ASMSTART
	v_dot2_f32_f16 v79, v107, v95, v79
	;;#ASMEND
	;; [unrolled: 3-line block ×12, first 2 shown]
	s_waitcnt lgkmcnt(1)
	;;#ASMSTART
	v_dot2_f32_f16 v84, v110, v90, v84
	;;#ASMEND
	;;#ASMSTART
	v_dot2_f32_f16 v84, v111, v91, v84
	;;#ASMEND
	;; [unrolled: 3-line block ×16, first 2 shown]
	s_waitcnt lgkmcnt(0)
	;;#ASMSTART
	v_dot2_f32_f16 v85, v114, v90, v85
	;;#ASMEND
	;;#ASMSTART
	v_dot2_f32_f16 v85, v115, v91, v85
	;;#ASMEND
	;; [unrolled: 3-line block ×16, first 2 shown]
	ds_read_b128 v[86:89], v38 offset:64
	ds_read_b128 v[90:93], v30 offset:320
	;; [unrolled: 1-line block ×8, first 2 shown]
	s_waitcnt lgkmcnt(6)
	;;#ASMSTART
	v_dot2_f32_f16 v82, v86, v90, v82
	;;#ASMEND
	;;#ASMSTART
	v_dot2_f32_f16 v82, v87, v91, v82
	;;#ASMEND
	;;#ASMSTART
	v_dot2_f32_f16 v82, v88, v92, v82
	;;#ASMEND
	;;#ASMSTART
	v_dot2_f32_f16 v82, v89, v93, v82
	;;#ASMEND
	s_waitcnt lgkmcnt(5)
	;;#ASMSTART
	v_dot2_f32_f16 v78, v86, v94, v78
	;;#ASMEND
	;;#ASMSTART
	v_dot2_f32_f16 v78, v87, v95, v78
	;;#ASMEND
	;;#ASMSTART
	v_dot2_f32_f16 v78, v88, v96, v78
	;;#ASMEND
	;;#ASMSTART
	v_dot2_f32_f16 v78, v89, v97, v78
	;;#ASMEND
	;; [unrolled: 13-line block ×5, first 2 shown]
	;;#ASMSTART
	v_dot2_f32_f16 v79, v106, v94, v79
	;;#ASMEND
	;;#ASMSTART
	v_dot2_f32_f16 v79, v107, v95, v79
	;;#ASMEND
	;; [unrolled: 3-line block ×12, first 2 shown]
	s_waitcnt lgkmcnt(1)
	;;#ASMSTART
	v_dot2_f32_f16 v84, v110, v90, v84
	;;#ASMEND
	;;#ASMSTART
	v_dot2_f32_f16 v84, v111, v91, v84
	;;#ASMEND
	;; [unrolled: 3-line block ×16, first 2 shown]
	s_waitcnt lgkmcnt(0)
	;;#ASMSTART
	v_dot2_f32_f16 v85, v114, v90, v85
	;;#ASMEND
	;;#ASMSTART
	v_dot2_f32_f16 v85, v115, v91, v85
	;;#ASMEND
	;; [unrolled: 3-line block ×16, first 2 shown]
	ds_read_b128 v[86:89], v38 offset:80
	ds_read_b128 v[90:93], v30 offset:336
	;; [unrolled: 1-line block ×8, first 2 shown]
	s_waitcnt lgkmcnt(6)
	;;#ASMSTART
	v_dot2_f32_f16 v82, v86, v90, v82
	;;#ASMEND
	;;#ASMSTART
	v_dot2_f32_f16 v82, v87, v91, v82
	;;#ASMEND
	;;#ASMSTART
	v_dot2_f32_f16 v82, v88, v92, v82
	;;#ASMEND
	;;#ASMSTART
	v_dot2_f32_f16 v82, v89, v93, v82
	;;#ASMEND
	s_waitcnt lgkmcnt(5)
	;;#ASMSTART
	v_dot2_f32_f16 v78, v86, v94, v78
	;;#ASMEND
	;;#ASMSTART
	v_dot2_f32_f16 v78, v87, v95, v78
	;;#ASMEND
	;;#ASMSTART
	v_dot2_f32_f16 v78, v88, v96, v78
	;;#ASMEND
	;;#ASMSTART
	v_dot2_f32_f16 v78, v89, v97, v78
	;;#ASMEND
	;; [unrolled: 13-line block ×5, first 2 shown]
	;;#ASMSTART
	v_dot2_f32_f16 v79, v106, v94, v79
	;;#ASMEND
	;;#ASMSTART
	v_dot2_f32_f16 v79, v107, v95, v79
	;;#ASMEND
	;; [unrolled: 3-line block ×12, first 2 shown]
	s_waitcnt lgkmcnt(1)
	;;#ASMSTART
	v_dot2_f32_f16 v84, v110, v90, v84
	;;#ASMEND
	;;#ASMSTART
	v_dot2_f32_f16 v84, v111, v91, v84
	;;#ASMEND
	;; [unrolled: 3-line block ×16, first 2 shown]
	s_waitcnt lgkmcnt(0)
	;;#ASMSTART
	v_dot2_f32_f16 v85, v114, v90, v85
	;;#ASMEND
	;;#ASMSTART
	v_dot2_f32_f16 v85, v115, v91, v85
	;;#ASMEND
	;; [unrolled: 3-line block ×16, first 2 shown]
	ds_read_b128 v[86:89], v38 offset:96
	ds_read_b128 v[90:93], v30 offset:352
	;; [unrolled: 1-line block ×8, first 2 shown]
	s_waitcnt lgkmcnt(6)
	;;#ASMSTART
	v_dot2_f32_f16 v82, v86, v90, v82
	;;#ASMEND
	;;#ASMSTART
	v_dot2_f32_f16 v82, v87, v91, v82
	;;#ASMEND
	;;#ASMSTART
	v_dot2_f32_f16 v82, v88, v92, v82
	;;#ASMEND
	;;#ASMSTART
	v_dot2_f32_f16 v82, v89, v93, v82
	;;#ASMEND
	s_waitcnt lgkmcnt(5)
	;;#ASMSTART
	v_dot2_f32_f16 v78, v86, v94, v78
	;;#ASMEND
	;;#ASMSTART
	v_dot2_f32_f16 v78, v87, v95, v78
	;;#ASMEND
	;;#ASMSTART
	v_dot2_f32_f16 v78, v88, v96, v78
	;;#ASMEND
	;;#ASMSTART
	v_dot2_f32_f16 v78, v89, v97, v78
	;;#ASMEND
	;; [unrolled: 13-line block ×5, first 2 shown]
	;;#ASMSTART
	v_dot2_f32_f16 v79, v106, v94, v79
	;;#ASMEND
	;;#ASMSTART
	v_dot2_f32_f16 v79, v107, v95, v79
	;;#ASMEND
	;;#ASMSTART
	v_dot2_f32_f16 v79, v108, v96, v79
	;;#ASMEND
	;;#ASMSTART
	v_dot2_f32_f16 v79, v109, v97, v79
	;;#ASMEND
	;;#ASMSTART
	v_dot2_f32_f16 v75, v106, v98, v75
	;;#ASMEND
	;;#ASMSTART
	v_dot2_f32_f16 v75, v107, v99, v75
	;;#ASMEND
	;;#ASMSTART
	v_dot2_f32_f16 v75, v108, v100, v75
	;;#ASMEND
	;;#ASMSTART
	v_dot2_f32_f16 v75, v109, v101, v75
	;;#ASMEND
	;;#ASMSTART
	v_dot2_f32_f16 v71, v106, v102, v71
	;;#ASMEND
	;;#ASMSTART
	v_dot2_f32_f16 v71, v107, v103, v71
	;;#ASMEND
	;;#ASMSTART
	v_dot2_f32_f16 v71, v108, v104, v71
	;;#ASMEND
	;;#ASMSTART
	v_dot2_f32_f16 v71, v109, v105, v71
	;;#ASMEND
	s_waitcnt lgkmcnt(1)
	;;#ASMSTART
	v_dot2_f32_f16 v84, v110, v90, v84
	;;#ASMEND
	;;#ASMSTART
	v_dot2_f32_f16 v84, v111, v91, v84
	;;#ASMEND
	;; [unrolled: 3-line block ×16, first 2 shown]
	s_waitcnt lgkmcnt(0)
	;;#ASMSTART
	v_dot2_f32_f16 v85, v114, v90, v85
	;;#ASMEND
	;;#ASMSTART
	v_dot2_f32_f16 v85, v115, v91, v85
	;;#ASMEND
	;; [unrolled: 3-line block ×16, first 2 shown]
	ds_read_b128 v[86:89], v38 offset:112
	ds_read_b128 v[90:93], v30 offset:368
	;; [unrolled: 1-line block ×8, first 2 shown]
	s_waitcnt lgkmcnt(6)
	;;#ASMSTART
	v_dot2_f32_f16 v82, v86, v90, v82
	;;#ASMEND
	;;#ASMSTART
	v_dot2_f32_f16 v82, v87, v91, v82
	;;#ASMEND
	;;#ASMSTART
	v_dot2_f32_f16 v82, v88, v92, v82
	;;#ASMEND
	;;#ASMSTART
	v_dot2_f32_f16 v82, v89, v93, v82
	;;#ASMEND
	s_waitcnt lgkmcnt(5)
	;;#ASMSTART
	v_dot2_f32_f16 v78, v86, v94, v78
	;;#ASMEND
	;;#ASMSTART
	v_dot2_f32_f16 v78, v87, v95, v78
	;;#ASMEND
	;;#ASMSTART
	v_dot2_f32_f16 v78, v88, v96, v78
	;;#ASMEND
	;;#ASMSTART
	v_dot2_f32_f16 v78, v89, v97, v78
	;;#ASMEND
	;; [unrolled: 13-line block ×5, first 2 shown]
	;;#ASMSTART
	v_dot2_f32_f16 v79, v106, v94, v79
	;;#ASMEND
	;;#ASMSTART
	v_dot2_f32_f16 v79, v107, v95, v79
	;;#ASMEND
	;; [unrolled: 3-line block ×12, first 2 shown]
	s_waitcnt lgkmcnt(1)
	;;#ASMSTART
	v_dot2_f32_f16 v84, v110, v90, v84
	;;#ASMEND
	;;#ASMSTART
	v_dot2_f32_f16 v84, v111, v91, v84
	;;#ASMEND
	;; [unrolled: 3-line block ×16, first 2 shown]
	s_waitcnt lgkmcnt(0)
	;;#ASMSTART
	v_dot2_f32_f16 v85, v114, v90, v85
	;;#ASMEND
	;;#ASMSTART
	v_dot2_f32_f16 v85, v115, v91, v85
	;;#ASMEND
	;; [unrolled: 3-line block ×16, first 2 shown]
	s_barrier
	buffer_gl0_inv
	s_clause 0x3
	global_load_dwordx4 v[86:89], v[1:2], off offset:384
	global_load_dwordx4 v[90:93], v[3:4], off offset:384
	;; [unrolled: 1-line block ×4, first 2 shown]
	s_waitcnt vmcnt(3)
	ds_write_b128 v33, v[86:89]
	s_waitcnt vmcnt(2)
	ds_write_b128 v34, v[90:93]
	;; [unrolled: 2-line block ×4, first 2 shown]
	s_waitcnt lgkmcnt(0)
	s_barrier
	buffer_gl0_inv
	ds_read_b128 v[86:89], v38
	ds_read_b128 v[90:93], v30 offset:384
	ds_read_b128 v[94:97], v30 offset:1024
	;; [unrolled: 1-line block ×7, first 2 shown]
	s_waitcnt lgkmcnt(6)
	;;#ASMSTART
	v_dot2_f32_f16 v82, v86, v90, v82
	;;#ASMEND
	;;#ASMSTART
	v_dot2_f32_f16 v82, v87, v91, v82
	;;#ASMEND
	;;#ASMSTART
	v_dot2_f32_f16 v82, v88, v92, v82
	;;#ASMEND
	;;#ASMSTART
	v_dot2_f32_f16 v82, v89, v93, v82
	;;#ASMEND
	s_waitcnt lgkmcnt(5)
	;;#ASMSTART
	v_dot2_f32_f16 v78, v86, v94, v78
	;;#ASMEND
	;;#ASMSTART
	v_dot2_f32_f16 v78, v87, v95, v78
	;;#ASMEND
	;;#ASMSTART
	v_dot2_f32_f16 v78, v88, v96, v78
	;;#ASMEND
	;;#ASMSTART
	v_dot2_f32_f16 v78, v89, v97, v78
	;;#ASMEND
	;; [unrolled: 13-line block ×5, first 2 shown]
	;;#ASMSTART
	v_dot2_f32_f16 v79, v106, v94, v79
	;;#ASMEND
	;;#ASMSTART
	v_dot2_f32_f16 v79, v107, v95, v79
	;;#ASMEND
	;; [unrolled: 3-line block ×12, first 2 shown]
	s_waitcnt lgkmcnt(1)
	;;#ASMSTART
	v_dot2_f32_f16 v84, v110, v90, v84
	;;#ASMEND
	;;#ASMSTART
	v_dot2_f32_f16 v84, v111, v91, v84
	;;#ASMEND
	;; [unrolled: 3-line block ×16, first 2 shown]
	s_waitcnt lgkmcnt(0)
	;;#ASMSTART
	v_dot2_f32_f16 v85, v114, v90, v85
	;;#ASMEND
	;;#ASMSTART
	v_dot2_f32_f16 v85, v115, v91, v85
	;;#ASMEND
	;; [unrolled: 3-line block ×16, first 2 shown]
	ds_read_b128 v[86:89], v38 offset:16
	ds_read_b128 v[90:93], v30 offset:400
	;; [unrolled: 1-line block ×8, first 2 shown]
	s_waitcnt lgkmcnt(6)
	;;#ASMSTART
	v_dot2_f32_f16 v82, v86, v90, v82
	;;#ASMEND
	;;#ASMSTART
	v_dot2_f32_f16 v82, v87, v91, v82
	;;#ASMEND
	;;#ASMSTART
	v_dot2_f32_f16 v82, v88, v92, v82
	;;#ASMEND
	;;#ASMSTART
	v_dot2_f32_f16 v82, v89, v93, v82
	;;#ASMEND
	s_waitcnt lgkmcnt(5)
	;;#ASMSTART
	v_dot2_f32_f16 v78, v86, v94, v78
	;;#ASMEND
	;;#ASMSTART
	v_dot2_f32_f16 v78, v87, v95, v78
	;;#ASMEND
	;;#ASMSTART
	v_dot2_f32_f16 v78, v88, v96, v78
	;;#ASMEND
	;;#ASMSTART
	v_dot2_f32_f16 v78, v89, v97, v78
	;;#ASMEND
	;; [unrolled: 13-line block ×5, first 2 shown]
	;;#ASMSTART
	v_dot2_f32_f16 v79, v106, v94, v79
	;;#ASMEND
	;;#ASMSTART
	v_dot2_f32_f16 v79, v107, v95, v79
	;;#ASMEND
	;; [unrolled: 3-line block ×12, first 2 shown]
	s_waitcnt lgkmcnt(1)
	;;#ASMSTART
	v_dot2_f32_f16 v84, v110, v90, v84
	;;#ASMEND
	;;#ASMSTART
	v_dot2_f32_f16 v84, v111, v91, v84
	;;#ASMEND
	;; [unrolled: 3-line block ×16, first 2 shown]
	s_waitcnt lgkmcnt(0)
	;;#ASMSTART
	v_dot2_f32_f16 v85, v114, v90, v85
	;;#ASMEND
	;;#ASMSTART
	v_dot2_f32_f16 v85, v115, v91, v85
	;;#ASMEND
	;; [unrolled: 3-line block ×16, first 2 shown]
	ds_read_b128 v[86:89], v38 offset:32
	ds_read_b128 v[90:93], v30 offset:416
	;; [unrolled: 1-line block ×8, first 2 shown]
	s_waitcnt lgkmcnt(6)
	;;#ASMSTART
	v_dot2_f32_f16 v82, v86, v90, v82
	;;#ASMEND
	;;#ASMSTART
	v_dot2_f32_f16 v82, v87, v91, v82
	;;#ASMEND
	;;#ASMSTART
	v_dot2_f32_f16 v82, v88, v92, v82
	;;#ASMEND
	;;#ASMSTART
	v_dot2_f32_f16 v82, v89, v93, v82
	;;#ASMEND
	s_waitcnt lgkmcnt(5)
	;;#ASMSTART
	v_dot2_f32_f16 v78, v86, v94, v78
	;;#ASMEND
	;;#ASMSTART
	v_dot2_f32_f16 v78, v87, v95, v78
	;;#ASMEND
	;;#ASMSTART
	v_dot2_f32_f16 v78, v88, v96, v78
	;;#ASMEND
	;;#ASMSTART
	v_dot2_f32_f16 v78, v89, v97, v78
	;;#ASMEND
	;; [unrolled: 13-line block ×5, first 2 shown]
	;;#ASMSTART
	v_dot2_f32_f16 v79, v106, v94, v79
	;;#ASMEND
	;;#ASMSTART
	v_dot2_f32_f16 v79, v107, v95, v79
	;;#ASMEND
	;; [unrolled: 3-line block ×12, first 2 shown]
	s_waitcnt lgkmcnt(1)
	;;#ASMSTART
	v_dot2_f32_f16 v84, v110, v90, v84
	;;#ASMEND
	;;#ASMSTART
	v_dot2_f32_f16 v84, v111, v91, v84
	;;#ASMEND
	;; [unrolled: 3-line block ×16, first 2 shown]
	s_waitcnt lgkmcnt(0)
	;;#ASMSTART
	v_dot2_f32_f16 v85, v114, v90, v85
	;;#ASMEND
	;;#ASMSTART
	v_dot2_f32_f16 v85, v115, v91, v85
	;;#ASMEND
	;; [unrolled: 3-line block ×16, first 2 shown]
	ds_read_b128 v[86:89], v38 offset:48
	ds_read_b128 v[90:93], v30 offset:432
	;; [unrolled: 1-line block ×8, first 2 shown]
	s_waitcnt lgkmcnt(6)
	;;#ASMSTART
	v_dot2_f32_f16 v82, v86, v90, v82
	;;#ASMEND
	;;#ASMSTART
	v_dot2_f32_f16 v82, v87, v91, v82
	;;#ASMEND
	;;#ASMSTART
	v_dot2_f32_f16 v82, v88, v92, v82
	;;#ASMEND
	;;#ASMSTART
	v_dot2_f32_f16 v82, v89, v93, v82
	;;#ASMEND
	s_waitcnt lgkmcnt(5)
	;;#ASMSTART
	v_dot2_f32_f16 v78, v86, v94, v78
	;;#ASMEND
	;;#ASMSTART
	v_dot2_f32_f16 v78, v87, v95, v78
	;;#ASMEND
	;;#ASMSTART
	v_dot2_f32_f16 v78, v88, v96, v78
	;;#ASMEND
	;;#ASMSTART
	v_dot2_f32_f16 v78, v89, v97, v78
	;;#ASMEND
	;; [unrolled: 13-line block ×5, first 2 shown]
	;;#ASMSTART
	v_dot2_f32_f16 v79, v106, v94, v79
	;;#ASMEND
	;;#ASMSTART
	v_dot2_f32_f16 v79, v107, v95, v79
	;;#ASMEND
	;; [unrolled: 3-line block ×12, first 2 shown]
	s_waitcnt lgkmcnt(1)
	;;#ASMSTART
	v_dot2_f32_f16 v84, v110, v90, v84
	;;#ASMEND
	;;#ASMSTART
	v_dot2_f32_f16 v84, v111, v91, v84
	;;#ASMEND
	;; [unrolled: 3-line block ×16, first 2 shown]
	s_waitcnt lgkmcnt(0)
	;;#ASMSTART
	v_dot2_f32_f16 v85, v114, v90, v85
	;;#ASMEND
	;;#ASMSTART
	v_dot2_f32_f16 v85, v115, v91, v85
	;;#ASMEND
	;; [unrolled: 3-line block ×16, first 2 shown]
	ds_read_b128 v[86:89], v38 offset:64
	ds_read_b128 v[90:93], v30 offset:448
	;; [unrolled: 1-line block ×8, first 2 shown]
	s_waitcnt lgkmcnt(6)
	;;#ASMSTART
	v_dot2_f32_f16 v82, v86, v90, v82
	;;#ASMEND
	;;#ASMSTART
	v_dot2_f32_f16 v82, v87, v91, v82
	;;#ASMEND
	;;#ASMSTART
	v_dot2_f32_f16 v82, v88, v92, v82
	;;#ASMEND
	;;#ASMSTART
	v_dot2_f32_f16 v82, v89, v93, v82
	;;#ASMEND
	s_waitcnt lgkmcnt(5)
	;;#ASMSTART
	v_dot2_f32_f16 v78, v86, v94, v78
	;;#ASMEND
	;;#ASMSTART
	v_dot2_f32_f16 v78, v87, v95, v78
	;;#ASMEND
	;;#ASMSTART
	v_dot2_f32_f16 v78, v88, v96, v78
	;;#ASMEND
	;;#ASMSTART
	v_dot2_f32_f16 v78, v89, v97, v78
	;;#ASMEND
	;; [unrolled: 13-line block ×5, first 2 shown]
	;;#ASMSTART
	v_dot2_f32_f16 v79, v106, v94, v79
	;;#ASMEND
	;;#ASMSTART
	v_dot2_f32_f16 v79, v107, v95, v79
	;;#ASMEND
	;; [unrolled: 3-line block ×12, first 2 shown]
	s_waitcnt lgkmcnt(1)
	;;#ASMSTART
	v_dot2_f32_f16 v84, v110, v90, v84
	;;#ASMEND
	;;#ASMSTART
	v_dot2_f32_f16 v84, v111, v91, v84
	;;#ASMEND
	;; [unrolled: 3-line block ×16, first 2 shown]
	s_waitcnt lgkmcnt(0)
	;;#ASMSTART
	v_dot2_f32_f16 v85, v114, v90, v85
	;;#ASMEND
	;;#ASMSTART
	v_dot2_f32_f16 v85, v115, v91, v85
	;;#ASMEND
	;; [unrolled: 3-line block ×16, first 2 shown]
	ds_read_b128 v[86:89], v38 offset:80
	ds_read_b128 v[90:93], v30 offset:464
	;; [unrolled: 1-line block ×8, first 2 shown]
	s_waitcnt lgkmcnt(6)
	;;#ASMSTART
	v_dot2_f32_f16 v82, v86, v90, v82
	;;#ASMEND
	;;#ASMSTART
	v_dot2_f32_f16 v82, v87, v91, v82
	;;#ASMEND
	;;#ASMSTART
	v_dot2_f32_f16 v82, v88, v92, v82
	;;#ASMEND
	;;#ASMSTART
	v_dot2_f32_f16 v82, v89, v93, v82
	;;#ASMEND
	s_waitcnt lgkmcnt(5)
	;;#ASMSTART
	v_dot2_f32_f16 v78, v86, v94, v78
	;;#ASMEND
	;;#ASMSTART
	v_dot2_f32_f16 v78, v87, v95, v78
	;;#ASMEND
	;;#ASMSTART
	v_dot2_f32_f16 v78, v88, v96, v78
	;;#ASMEND
	;;#ASMSTART
	v_dot2_f32_f16 v78, v89, v97, v78
	;;#ASMEND
	s_waitcnt lgkmcnt(4)
	;;#ASMSTART
	v_dot2_f32_f16 v74, v86, v98, v74
	;;#ASMEND
	;;#ASMSTART
	v_dot2_f32_f16 v74, v87, v99, v74
	;;#ASMEND
	;;#ASMSTART
	v_dot2_f32_f16 v74, v88, v100, v74
	;;#ASMEND
	;;#ASMSTART
	v_dot2_f32_f16 v74, v89, v101, v74
	;;#ASMEND
	s_waitcnt lgkmcnt(3)
	;;#ASMSTART
	v_dot2_f32_f16 v70, v86, v102, v70
	;;#ASMEND
	;;#ASMSTART
	v_dot2_f32_f16 v70, v87, v103, v70
	;;#ASMEND
	;;#ASMSTART
	v_dot2_f32_f16 v70, v88, v104, v70
	;;#ASMEND
	;;#ASMSTART
	v_dot2_f32_f16 v70, v89, v105, v70
	;;#ASMEND
	s_waitcnt lgkmcnt(2)
	;;#ASMSTART
	v_dot2_f32_f16 v83, v106, v90, v83
	;;#ASMEND
	;;#ASMSTART
	v_dot2_f32_f16 v83, v107, v91, v83
	;;#ASMEND
	;;#ASMSTART
	v_dot2_f32_f16 v83, v108, v92, v83
	;;#ASMEND
	;;#ASMSTART
	v_dot2_f32_f16 v83, v109, v93, v83
	;;#ASMEND
	;;#ASMSTART
	v_dot2_f32_f16 v79, v106, v94, v79
	;;#ASMEND
	;;#ASMSTART
	v_dot2_f32_f16 v79, v107, v95, v79
	;;#ASMEND
	;;#ASMSTART
	v_dot2_f32_f16 v79, v108, v96, v79
	;;#ASMEND
	;;#ASMSTART
	v_dot2_f32_f16 v79, v109, v97, v79
	;;#ASMEND
	;;#ASMSTART
	v_dot2_f32_f16 v75, v106, v98, v75
	;;#ASMEND
	;;#ASMSTART
	v_dot2_f32_f16 v75, v107, v99, v75
	;;#ASMEND
	;;#ASMSTART
	v_dot2_f32_f16 v75, v108, v100, v75
	;;#ASMEND
	;;#ASMSTART
	v_dot2_f32_f16 v75, v109, v101, v75
	;;#ASMEND
	;;#ASMSTART
	v_dot2_f32_f16 v71, v106, v102, v71
	;;#ASMEND
	;;#ASMSTART
	v_dot2_f32_f16 v71, v107, v103, v71
	;;#ASMEND
	;;#ASMSTART
	v_dot2_f32_f16 v71, v108, v104, v71
	;;#ASMEND
	;;#ASMSTART
	v_dot2_f32_f16 v71, v109, v105, v71
	;;#ASMEND
	s_waitcnt lgkmcnt(1)
	;;#ASMSTART
	v_dot2_f32_f16 v84, v110, v90, v84
	;;#ASMEND
	;;#ASMSTART
	v_dot2_f32_f16 v84, v111, v91, v84
	;;#ASMEND
	;;#ASMSTART
	v_dot2_f32_f16 v84, v112, v92, v84
	;;#ASMEND
	;;#ASMSTART
	v_dot2_f32_f16 v84, v113, v93, v84
	;;#ASMEND
	;;#ASMSTART
	v_dot2_f32_f16 v80, v110, v94, v80
	;;#ASMEND
	;;#ASMSTART
	v_dot2_f32_f16 v80, v111, v95, v80
	;;#ASMEND
	;;#ASMSTART
	v_dot2_f32_f16 v80, v112, v96, v80
	;;#ASMEND
	;;#ASMSTART
	v_dot2_f32_f16 v80, v113, v97, v80
	;;#ASMEND
	;;#ASMSTART
	v_dot2_f32_f16 v76, v110, v98, v76
	;;#ASMEND
	;;#ASMSTART
	v_dot2_f32_f16 v76, v111, v99, v76
	;;#ASMEND
	;;#ASMSTART
	v_dot2_f32_f16 v76, v112, v100, v76
	;;#ASMEND
	;;#ASMSTART
	v_dot2_f32_f16 v76, v113, v101, v76
	;;#ASMEND
	;;#ASMSTART
	v_dot2_f32_f16 v72, v110, v102, v72
	;;#ASMEND
	;;#ASMSTART
	v_dot2_f32_f16 v72, v111, v103, v72
	;;#ASMEND
	;;#ASMSTART
	v_dot2_f32_f16 v72, v112, v104, v72
	;;#ASMEND
	;;#ASMSTART
	v_dot2_f32_f16 v72, v113, v105, v72
	;;#ASMEND
	s_waitcnt lgkmcnt(0)
	;;#ASMSTART
	v_dot2_f32_f16 v85, v114, v90, v85
	;;#ASMEND
	;;#ASMSTART
	v_dot2_f32_f16 v85, v115, v91, v85
	;;#ASMEND
	;; [unrolled: 3-line block ×16, first 2 shown]
	ds_read_b128 v[86:89], v38 offset:96
	ds_read_b128 v[90:93], v30 offset:480
	;; [unrolled: 1-line block ×8, first 2 shown]
	s_waitcnt lgkmcnt(6)
	;;#ASMSTART
	v_dot2_f32_f16 v82, v86, v90, v82
	;;#ASMEND
	;;#ASMSTART
	v_dot2_f32_f16 v82, v87, v91, v82
	;;#ASMEND
	;;#ASMSTART
	v_dot2_f32_f16 v82, v88, v92, v82
	;;#ASMEND
	;;#ASMSTART
	v_dot2_f32_f16 v82, v89, v93, v82
	;;#ASMEND
	s_waitcnt lgkmcnt(5)
	;;#ASMSTART
	v_dot2_f32_f16 v78, v86, v94, v78
	;;#ASMEND
	;;#ASMSTART
	v_dot2_f32_f16 v78, v87, v95, v78
	;;#ASMEND
	;;#ASMSTART
	v_dot2_f32_f16 v78, v88, v96, v78
	;;#ASMEND
	;;#ASMSTART
	v_dot2_f32_f16 v78, v89, v97, v78
	;;#ASMEND
	s_waitcnt lgkmcnt(4)
	;;#ASMSTART
	v_dot2_f32_f16 v74, v86, v98, v74
	;;#ASMEND
	;;#ASMSTART
	v_dot2_f32_f16 v74, v87, v99, v74
	;;#ASMEND
	;;#ASMSTART
	v_dot2_f32_f16 v74, v88, v100, v74
	;;#ASMEND
	;;#ASMSTART
	v_dot2_f32_f16 v74, v89, v101, v74
	;;#ASMEND
	s_waitcnt lgkmcnt(3)
	;;#ASMSTART
	v_dot2_f32_f16 v70, v86, v102, v70
	;;#ASMEND
	;;#ASMSTART
	v_dot2_f32_f16 v70, v87, v103, v70
	;;#ASMEND
	;;#ASMSTART
	v_dot2_f32_f16 v70, v88, v104, v70
	;;#ASMEND
	;;#ASMSTART
	v_dot2_f32_f16 v70, v89, v105, v70
	;;#ASMEND
	s_waitcnt lgkmcnt(2)
	;;#ASMSTART
	v_dot2_f32_f16 v83, v106, v90, v83
	;;#ASMEND
	;;#ASMSTART
	v_dot2_f32_f16 v83, v107, v91, v83
	;;#ASMEND
	;;#ASMSTART
	v_dot2_f32_f16 v83, v108, v92, v83
	;;#ASMEND
	;;#ASMSTART
	v_dot2_f32_f16 v83, v109, v93, v83
	;;#ASMEND
	;;#ASMSTART
	v_dot2_f32_f16 v79, v106, v94, v79
	;;#ASMEND
	;;#ASMSTART
	v_dot2_f32_f16 v79, v107, v95, v79
	;;#ASMEND
	;; [unrolled: 3-line block ×12, first 2 shown]
	s_waitcnt lgkmcnt(1)
	;;#ASMSTART
	v_dot2_f32_f16 v84, v110, v90, v84
	;;#ASMEND
	;;#ASMSTART
	v_dot2_f32_f16 v84, v111, v91, v84
	;;#ASMEND
	;; [unrolled: 3-line block ×16, first 2 shown]
	s_waitcnt lgkmcnt(0)
	;;#ASMSTART
	v_dot2_f32_f16 v85, v114, v90, v85
	;;#ASMEND
	;;#ASMSTART
	v_dot2_f32_f16 v85, v115, v91, v85
	;;#ASMEND
	;; [unrolled: 3-line block ×16, first 2 shown]
	ds_read_b128 v[86:89], v38 offset:112
	ds_read_b128 v[90:93], v30 offset:496
	ds_read_b128 v[94:97], v30 offset:1136
	ds_read_b128 v[98:101], v30 offset:1776
	ds_read_b128 v[102:105], v30 offset:2416
	ds_read_b128 v[106:109], v38 offset:4720
	ds_read_b128 v[110:113], v38 offset:9328
	ds_read_b128 v[114:117], v38 offset:13936
	s_waitcnt lgkmcnt(6)
	;;#ASMSTART
	v_dot2_f32_f16 v82, v86, v90, v82
	;;#ASMEND
	;;#ASMSTART
	v_dot2_f32_f16 v82, v87, v91, v82
	;;#ASMEND
	;;#ASMSTART
	v_dot2_f32_f16 v82, v88, v92, v82
	;;#ASMEND
	;;#ASMSTART
	v_dot2_f32_f16 v82, v89, v93, v82
	;;#ASMEND
	s_waitcnt lgkmcnt(5)
	;;#ASMSTART
	v_dot2_f32_f16 v78, v86, v94, v78
	;;#ASMEND
	;;#ASMSTART
	v_dot2_f32_f16 v78, v87, v95, v78
	;;#ASMEND
	;;#ASMSTART
	v_dot2_f32_f16 v78, v88, v96, v78
	;;#ASMEND
	;;#ASMSTART
	v_dot2_f32_f16 v78, v89, v97, v78
	;;#ASMEND
	;; [unrolled: 13-line block ×5, first 2 shown]
	;;#ASMSTART
	v_dot2_f32_f16 v79, v106, v94, v79
	;;#ASMEND
	;;#ASMSTART
	v_dot2_f32_f16 v79, v107, v95, v79
	;;#ASMEND
	;; [unrolled: 3-line block ×12, first 2 shown]
	s_waitcnt lgkmcnt(1)
	;;#ASMSTART
	v_dot2_f32_f16 v84, v110, v90, v84
	;;#ASMEND
	;;#ASMSTART
	v_dot2_f32_f16 v84, v111, v91, v84
	;;#ASMEND
	;; [unrolled: 3-line block ×16, first 2 shown]
	s_waitcnt lgkmcnt(0)
	;;#ASMSTART
	v_dot2_f32_f16 v85, v114, v90, v85
	;;#ASMEND
	;;#ASMSTART
	v_dot2_f32_f16 v85, v115, v91, v85
	;;#ASMEND
	;; [unrolled: 3-line block ×16, first 2 shown]
	s_barrier
	buffer_gl0_inv
	s_clause 0x3
	global_load_dwordx4 v[86:89], v[1:2], off offset:512
	global_load_dwordx4 v[1:4], v[3:4], off offset:512
	;; [unrolled: 1-line block ×4, first 2 shown]
	s_waitcnt vmcnt(3)
	ds_write_b128 v33, v[86:89]
	s_waitcnt vmcnt(2)
	ds_write_b128 v34, v[1:4]
	s_waitcnt vmcnt(1)
	ds_write_b128 v35, v[90:93]
	s_waitcnt vmcnt(0)
	ds_write_b128 v36, v[24:27]
	s_waitcnt lgkmcnt(0)
	s_barrier
	buffer_gl0_inv
	ds_read_b128 v[1:4], v38
	ds_read_b128 v[24:27], v30 offset:512
	ds_read_b128 v[86:89], v30 offset:1152
	;; [unrolled: 1-line block ×7, first 2 shown]
	s_waitcnt lgkmcnt(6)
	;;#ASMSTART
	v_dot2_f32_f16 v82, v1, v24, v82
	;;#ASMEND
	;;#ASMSTART
	v_dot2_f32_f16 v82, v2, v25, v82
	;;#ASMEND
	;;#ASMSTART
	v_dot2_f32_f16 v82, v3, v26, v82
	;;#ASMEND
	;;#ASMSTART
	v_dot2_f32_f16 v82, v4, v27, v82
	;;#ASMEND
	s_waitcnt lgkmcnt(5)
	;;#ASMSTART
	v_dot2_f32_f16 v78, v1, v86, v78
	;;#ASMEND
	;;#ASMSTART
	v_dot2_f32_f16 v78, v2, v87, v78
	;;#ASMEND
	;;#ASMSTART
	v_dot2_f32_f16 v78, v3, v88, v78
	;;#ASMEND
	;;#ASMSTART
	v_dot2_f32_f16 v78, v4, v89, v78
	;;#ASMEND
	;; [unrolled: 13-line block ×5, first 2 shown]
	;;#ASMSTART
	v_dot2_f32_f16 v79, v98, v86, v79
	;;#ASMEND
	;;#ASMSTART
	v_dot2_f32_f16 v79, v99, v87, v79
	;;#ASMEND
	;; [unrolled: 3-line block ×12, first 2 shown]
	s_waitcnt lgkmcnt(1)
	;;#ASMSTART
	v_dot2_f32_f16 v84, v102, v24, v84
	;;#ASMEND
	;;#ASMSTART
	v_dot2_f32_f16 v84, v103, v25, v84
	;;#ASMEND
	;; [unrolled: 3-line block ×16, first 2 shown]
	s_waitcnt lgkmcnt(0)
	;;#ASMSTART
	v_dot2_f32_f16 v85, v106, v24, v85
	;;#ASMEND
	;;#ASMSTART
	v_dot2_f32_f16 v85, v107, v25, v85
	;;#ASMEND
	;; [unrolled: 3-line block ×16, first 2 shown]
	ds_read_b128 v[1:4], v38 offset:16
	ds_read_b128 v[24:27], v30 offset:528
	;; [unrolled: 1-line block ×8, first 2 shown]
	s_waitcnt lgkmcnt(6)
	;;#ASMSTART
	v_dot2_f32_f16 v82, v1, v24, v82
	;;#ASMEND
	;;#ASMSTART
	v_dot2_f32_f16 v82, v2, v25, v82
	;;#ASMEND
	;;#ASMSTART
	v_dot2_f32_f16 v82, v3, v26, v82
	;;#ASMEND
	;;#ASMSTART
	v_dot2_f32_f16 v82, v4, v27, v82
	;;#ASMEND
	s_waitcnt lgkmcnt(5)
	;;#ASMSTART
	v_dot2_f32_f16 v78, v1, v86, v78
	;;#ASMEND
	;;#ASMSTART
	v_dot2_f32_f16 v78, v2, v87, v78
	;;#ASMEND
	;;#ASMSTART
	v_dot2_f32_f16 v78, v3, v88, v78
	;;#ASMEND
	;;#ASMSTART
	v_dot2_f32_f16 v78, v4, v89, v78
	;;#ASMEND
	;; [unrolled: 13-line block ×5, first 2 shown]
	;;#ASMSTART
	v_dot2_f32_f16 v79, v98, v86, v79
	;;#ASMEND
	;;#ASMSTART
	v_dot2_f32_f16 v79, v99, v87, v79
	;;#ASMEND
	;; [unrolled: 3-line block ×12, first 2 shown]
	s_waitcnt lgkmcnt(1)
	;;#ASMSTART
	v_dot2_f32_f16 v84, v102, v24, v84
	;;#ASMEND
	;;#ASMSTART
	v_dot2_f32_f16 v84, v103, v25, v84
	;;#ASMEND
	;; [unrolled: 3-line block ×16, first 2 shown]
	s_waitcnt lgkmcnt(0)
	;;#ASMSTART
	v_dot2_f32_f16 v85, v106, v24, v85
	;;#ASMEND
	;;#ASMSTART
	v_dot2_f32_f16 v85, v107, v25, v85
	;;#ASMEND
	;; [unrolled: 3-line block ×16, first 2 shown]
	ds_read_b128 v[1:4], v38 offset:32
	ds_read_b128 v[24:27], v30 offset:544
	;; [unrolled: 1-line block ×8, first 2 shown]
	s_waitcnt lgkmcnt(6)
	;;#ASMSTART
	v_dot2_f32_f16 v82, v1, v24, v82
	;;#ASMEND
	;;#ASMSTART
	v_dot2_f32_f16 v82, v2, v25, v82
	;;#ASMEND
	;;#ASMSTART
	v_dot2_f32_f16 v82, v3, v26, v82
	;;#ASMEND
	;;#ASMSTART
	v_dot2_f32_f16 v82, v4, v27, v82
	;;#ASMEND
	s_waitcnt lgkmcnt(5)
	;;#ASMSTART
	v_dot2_f32_f16 v78, v1, v86, v78
	;;#ASMEND
	;;#ASMSTART
	v_dot2_f32_f16 v78, v2, v87, v78
	;;#ASMEND
	;;#ASMSTART
	v_dot2_f32_f16 v78, v3, v88, v78
	;;#ASMEND
	;;#ASMSTART
	v_dot2_f32_f16 v78, v4, v89, v78
	;;#ASMEND
	;; [unrolled: 13-line block ×5, first 2 shown]
	;;#ASMSTART
	v_dot2_f32_f16 v79, v98, v86, v79
	;;#ASMEND
	;;#ASMSTART
	v_dot2_f32_f16 v79, v99, v87, v79
	;;#ASMEND
	;; [unrolled: 3-line block ×12, first 2 shown]
	s_waitcnt lgkmcnt(1)
	;;#ASMSTART
	v_dot2_f32_f16 v84, v102, v24, v84
	;;#ASMEND
	;;#ASMSTART
	v_dot2_f32_f16 v84, v103, v25, v84
	;;#ASMEND
	;; [unrolled: 3-line block ×16, first 2 shown]
	s_waitcnt lgkmcnt(0)
	;;#ASMSTART
	v_dot2_f32_f16 v85, v106, v24, v85
	;;#ASMEND
	;;#ASMSTART
	v_dot2_f32_f16 v85, v107, v25, v85
	;;#ASMEND
	;; [unrolled: 3-line block ×16, first 2 shown]
	ds_read_b128 v[1:4], v38 offset:48
	ds_read_b128 v[24:27], v30 offset:560
	;; [unrolled: 1-line block ×8, first 2 shown]
	s_waitcnt lgkmcnt(6)
	;;#ASMSTART
	v_dot2_f32_f16 v82, v1, v24, v82
	;;#ASMEND
	;;#ASMSTART
	v_dot2_f32_f16 v82, v2, v25, v82
	;;#ASMEND
	;;#ASMSTART
	v_dot2_f32_f16 v82, v3, v26, v82
	;;#ASMEND
	;;#ASMSTART
	v_dot2_f32_f16 v82, v4, v27, v82
	;;#ASMEND
	s_waitcnt lgkmcnt(5)
	;;#ASMSTART
	v_dot2_f32_f16 v78, v1, v86, v78
	;;#ASMEND
	;;#ASMSTART
	v_dot2_f32_f16 v78, v2, v87, v78
	;;#ASMEND
	;;#ASMSTART
	v_dot2_f32_f16 v78, v3, v88, v78
	;;#ASMEND
	;;#ASMSTART
	v_dot2_f32_f16 v78, v4, v89, v78
	;;#ASMEND
	;; [unrolled: 13-line block ×5, first 2 shown]
	;;#ASMSTART
	v_dot2_f32_f16 v79, v98, v86, v79
	;;#ASMEND
	;;#ASMSTART
	v_dot2_f32_f16 v79, v99, v87, v79
	;;#ASMEND
	;; [unrolled: 3-line block ×12, first 2 shown]
	s_waitcnt lgkmcnt(1)
	;;#ASMSTART
	v_dot2_f32_f16 v84, v102, v24, v84
	;;#ASMEND
	;;#ASMSTART
	v_dot2_f32_f16 v84, v103, v25, v84
	;;#ASMEND
	;; [unrolled: 3-line block ×16, first 2 shown]
	s_waitcnt lgkmcnt(0)
	;;#ASMSTART
	v_dot2_f32_f16 v85, v106, v24, v85
	;;#ASMEND
	;;#ASMSTART
	v_dot2_f32_f16 v85, v107, v25, v85
	;;#ASMEND
	;; [unrolled: 3-line block ×16, first 2 shown]
	ds_read_b128 v[1:4], v38 offset:64
	ds_read_b128 v[24:27], v30 offset:576
	;; [unrolled: 1-line block ×8, first 2 shown]
	s_waitcnt lgkmcnt(6)
	;;#ASMSTART
	v_dot2_f32_f16 v82, v1, v24, v82
	;;#ASMEND
	;;#ASMSTART
	v_dot2_f32_f16 v82, v2, v25, v82
	;;#ASMEND
	;;#ASMSTART
	v_dot2_f32_f16 v82, v3, v26, v82
	;;#ASMEND
	;;#ASMSTART
	v_dot2_f32_f16 v82, v4, v27, v82
	;;#ASMEND
	s_waitcnt lgkmcnt(5)
	;;#ASMSTART
	v_dot2_f32_f16 v78, v1, v86, v78
	;;#ASMEND
	;;#ASMSTART
	v_dot2_f32_f16 v78, v2, v87, v78
	;;#ASMEND
	;;#ASMSTART
	v_dot2_f32_f16 v78, v3, v88, v78
	;;#ASMEND
	;;#ASMSTART
	v_dot2_f32_f16 v78, v4, v89, v78
	;;#ASMEND
	;; [unrolled: 13-line block ×5, first 2 shown]
	;;#ASMSTART
	v_dot2_f32_f16 v79, v98, v86, v79
	;;#ASMEND
	;;#ASMSTART
	v_dot2_f32_f16 v79, v99, v87, v79
	;;#ASMEND
	;; [unrolled: 3-line block ×12, first 2 shown]
	s_waitcnt lgkmcnt(1)
	;;#ASMSTART
	v_dot2_f32_f16 v84, v102, v24, v84
	;;#ASMEND
	;;#ASMSTART
	v_dot2_f32_f16 v84, v103, v25, v84
	;;#ASMEND
	;; [unrolled: 3-line block ×16, first 2 shown]
	s_waitcnt lgkmcnt(0)
	;;#ASMSTART
	v_dot2_f32_f16 v85, v106, v24, v85
	;;#ASMEND
	;;#ASMSTART
	v_dot2_f32_f16 v85, v107, v25, v85
	;;#ASMEND
	;; [unrolled: 3-line block ×16, first 2 shown]
	ds_read_b128 v[1:4], v38 offset:80
	ds_read_b128 v[24:27], v30 offset:592
	;; [unrolled: 1-line block ×8, first 2 shown]
	s_waitcnt lgkmcnt(6)
	;;#ASMSTART
	v_dot2_f32_f16 v82, v1, v24, v82
	;;#ASMEND
	;;#ASMSTART
	v_dot2_f32_f16 v82, v2, v25, v82
	;;#ASMEND
	;;#ASMSTART
	v_dot2_f32_f16 v82, v3, v26, v82
	;;#ASMEND
	;;#ASMSTART
	v_dot2_f32_f16 v82, v4, v27, v82
	;;#ASMEND
	s_waitcnt lgkmcnt(5)
	;;#ASMSTART
	v_dot2_f32_f16 v78, v1, v86, v78
	;;#ASMEND
	;;#ASMSTART
	v_dot2_f32_f16 v78, v2, v87, v78
	;;#ASMEND
	;;#ASMSTART
	v_dot2_f32_f16 v78, v3, v88, v78
	;;#ASMEND
	;;#ASMSTART
	v_dot2_f32_f16 v78, v4, v89, v78
	;;#ASMEND
	;; [unrolled: 13-line block ×5, first 2 shown]
	;;#ASMSTART
	v_dot2_f32_f16 v79, v98, v86, v79
	;;#ASMEND
	;;#ASMSTART
	v_dot2_f32_f16 v79, v99, v87, v79
	;;#ASMEND
	;; [unrolled: 3-line block ×12, first 2 shown]
	s_waitcnt lgkmcnt(1)
	;;#ASMSTART
	v_dot2_f32_f16 v84, v102, v24, v84
	;;#ASMEND
	;;#ASMSTART
	v_dot2_f32_f16 v84, v103, v25, v84
	;;#ASMEND
	;; [unrolled: 3-line block ×16, first 2 shown]
	s_waitcnt lgkmcnt(0)
	;;#ASMSTART
	v_dot2_f32_f16 v85, v106, v24, v85
	;;#ASMEND
	;;#ASMSTART
	v_dot2_f32_f16 v85, v107, v25, v85
	;;#ASMEND
	;; [unrolled: 3-line block ×16, first 2 shown]
	ds_read_b128 v[1:4], v38 offset:96
	ds_read_b128 v[24:27], v30 offset:608
	;; [unrolled: 1-line block ×8, first 2 shown]
	s_waitcnt lgkmcnt(6)
	;;#ASMSTART
	v_dot2_f32_f16 v82, v1, v24, v82
	;;#ASMEND
	;;#ASMSTART
	v_dot2_f32_f16 v82, v2, v25, v82
	;;#ASMEND
	;;#ASMSTART
	v_dot2_f32_f16 v82, v3, v26, v82
	;;#ASMEND
	;;#ASMSTART
	v_dot2_f32_f16 v82, v4, v27, v82
	;;#ASMEND
	s_waitcnt lgkmcnt(5)
	;;#ASMSTART
	v_dot2_f32_f16 v78, v1, v86, v78
	;;#ASMEND
	;;#ASMSTART
	v_dot2_f32_f16 v78, v2, v87, v78
	;;#ASMEND
	;;#ASMSTART
	v_dot2_f32_f16 v78, v3, v88, v78
	;;#ASMEND
	;;#ASMSTART
	v_dot2_f32_f16 v78, v4, v89, v78
	;;#ASMEND
	;; [unrolled: 13-line block ×5, first 2 shown]
	;;#ASMSTART
	v_dot2_f32_f16 v79, v98, v86, v79
	;;#ASMEND
	;;#ASMSTART
	v_dot2_f32_f16 v79, v99, v87, v79
	;;#ASMEND
	;; [unrolled: 3-line block ×12, first 2 shown]
	s_waitcnt lgkmcnt(1)
	;;#ASMSTART
	v_dot2_f32_f16 v84, v102, v24, v84
	;;#ASMEND
	;;#ASMSTART
	v_dot2_f32_f16 v84, v103, v25, v84
	;;#ASMEND
	;; [unrolled: 3-line block ×16, first 2 shown]
	s_waitcnt lgkmcnt(0)
	;;#ASMSTART
	v_dot2_f32_f16 v85, v106, v24, v85
	;;#ASMEND
	;;#ASMSTART
	v_dot2_f32_f16 v85, v107, v25, v85
	;;#ASMEND
	;; [unrolled: 3-line block ×16, first 2 shown]
	ds_read_b128 v[1:4], v38 offset:112
	ds_read_b128 v[24:27], v30 offset:624
	;; [unrolled: 1-line block ×8, first 2 shown]
	s_waitcnt lgkmcnt(6)
	;;#ASMSTART
	v_dot2_f32_f16 v82, v1, v24, v82
	;;#ASMEND
	;;#ASMSTART
	v_dot2_f32_f16 v82, v2, v25, v82
	;;#ASMEND
	;;#ASMSTART
	v_dot2_f32_f16 v82, v3, v26, v82
	;;#ASMEND
	;;#ASMSTART
	v_dot2_f32_f16 v82, v4, v27, v82
	;;#ASMEND
	s_waitcnt lgkmcnt(5)
	;;#ASMSTART
	v_dot2_f32_f16 v78, v1, v86, v78
	;;#ASMEND
	;;#ASMSTART
	v_dot2_f32_f16 v78, v2, v87, v78
	;;#ASMEND
	;;#ASMSTART
	v_dot2_f32_f16 v78, v3, v88, v78
	;;#ASMEND
	;;#ASMSTART
	v_dot2_f32_f16 v78, v4, v89, v78
	;;#ASMEND
	;; [unrolled: 13-line block ×5, first 2 shown]
	;;#ASMSTART
	v_dot2_f32_f16 v79, v98, v86, v79
	;;#ASMEND
	;;#ASMSTART
	v_dot2_f32_f16 v79, v99, v87, v79
	;;#ASMEND
	;;#ASMSTART
	v_dot2_f32_f16 v79, v100, v88, v79
	;;#ASMEND
	;;#ASMSTART
	v_dot2_f32_f16 v79, v101, v89, v79
	;;#ASMEND
	;;#ASMSTART
	v_dot2_f32_f16 v75, v98, v90, v75
	;;#ASMEND
	;;#ASMSTART
	v_dot2_f32_f16 v75, v99, v91, v75
	;;#ASMEND
	;;#ASMSTART
	v_dot2_f32_f16 v75, v100, v92, v75
	;;#ASMEND
	;;#ASMSTART
	v_dot2_f32_f16 v75, v101, v93, v75
	;;#ASMEND
	;;#ASMSTART
	v_dot2_f32_f16 v71, v98, v94, v71
	;;#ASMEND
	;;#ASMSTART
	v_dot2_f32_f16 v71, v99, v95, v71
	;;#ASMEND
	;;#ASMSTART
	v_dot2_f32_f16 v71, v100, v96, v71
	;;#ASMEND
	;;#ASMSTART
	v_dot2_f32_f16 v71, v101, v97, v71
	;;#ASMEND
	s_waitcnt lgkmcnt(1)
	;;#ASMSTART
	v_dot2_f32_f16 v84, v102, v24, v84
	;;#ASMEND
	;;#ASMSTART
	v_dot2_f32_f16 v84, v103, v25, v84
	;;#ASMEND
	;;#ASMSTART
	v_dot2_f32_f16 v84, v104, v26, v84
	;;#ASMEND
	;;#ASMSTART
	v_dot2_f32_f16 v84, v105, v27, v84
	;;#ASMEND
	;;#ASMSTART
	v_dot2_f32_f16 v80, v102, v86, v80
	;;#ASMEND
	;;#ASMSTART
	v_dot2_f32_f16 v80, v103, v87, v80
	;;#ASMEND
	;;#ASMSTART
	v_dot2_f32_f16 v80, v104, v88, v80
	;;#ASMEND
	;;#ASMSTART
	v_dot2_f32_f16 v80, v105, v89, v80
	;;#ASMEND
	;;#ASMSTART
	v_dot2_f32_f16 v76, v102, v90, v76
	;;#ASMEND
	;;#ASMSTART
	v_dot2_f32_f16 v76, v103, v91, v76
	;;#ASMEND
	;;#ASMSTART
	v_dot2_f32_f16 v76, v104, v92, v76
	;;#ASMEND
	;;#ASMSTART
	v_dot2_f32_f16 v76, v105, v93, v76
	;;#ASMEND
	;;#ASMSTART
	v_dot2_f32_f16 v72, v102, v94, v72
	;;#ASMEND
	;;#ASMSTART
	v_dot2_f32_f16 v72, v103, v95, v72
	;;#ASMEND
	;;#ASMSTART
	v_dot2_f32_f16 v72, v104, v96, v72
	;;#ASMEND
	;;#ASMSTART
	v_dot2_f32_f16 v72, v105, v97, v72
	;;#ASMEND
	s_waitcnt lgkmcnt(0)
	;;#ASMSTART
	v_dot2_f32_f16 v85, v106, v24, v85
	;;#ASMEND
	;;#ASMSTART
	v_dot2_f32_f16 v85, v107, v25, v85
	;;#ASMEND
	;; [unrolled: 3-line block ×9, first 2 shown]
	v_cmp_ngt_f32_e64 s18, 0x3f200000, |v82|
	;;#ASMSTART
	v_dot2_f32_f16 v77, v107, v91, v77
	;;#ASMEND
	;;#ASMSTART
	v_dot2_f32_f16 v77, v108, v92, v77
	;;#ASMEND
	;; [unrolled: 3-line block ×7, first 2 shown]
                                        ; implicit-def: $vgpr3
	s_and_saveexec_b32 s19, s18
	s_xor_b32 s18, exec_lo, s19
	s_cbranch_execz .LBB5_19
; %bb.18:                               ;   in Loop: Header=BB5_17 Depth=1
	v_add_f32_e64 v1, |v82|, |v82|
	v_mul_f32_e32 v2, 0x3fb8aa3b, v1
	v_cmp_ngt_f32_e32 vcc_lo, 0xc2ce8ed0, v1
	v_rndne_f32_e32 v3, v2
	v_fma_f32 v4, 0x3fb8aa3b, v1, -v2
	v_sub_f32_e32 v2, v2, v3
	v_fmac_f32_e32 v4, 0x32a5705f, v1
	v_cvt_i32_f32_e32 v3, v3
	v_add_f32_e32 v2, v2, v4
	v_exp_f32_e32 v2, v2
	v_ldexp_f32 v2, v2, v3
	v_cndmask_b32_e32 v2, 0, v2, vcc_lo
	v_cmp_nlt_f32_e32 vcc_lo, 0x42b17218, v1
	v_cndmask_b32_e32 v1, 0x7f800000, v2, vcc_lo
	v_add_f32_e32 v1, 1.0, v1
	v_rcp_f32_e32 v1, v1
	v_fma_f32 v3, v1, -2.0, 1.0
.LBB5_19:                               ;   in Loop: Header=BB5_17 Depth=1
	s_andn2_saveexec_b32 s18, s18
	s_cbranch_execz .LBB5_21
; %bb.20:                               ;   in Loop: Header=BB5_17 Depth=1
	v_mul_f32_e32 v1, v82, v82
	v_fmaak_f32 v2, s15, v1, 0x3ca908c9
	v_fmaak_f32 v2, v1, v2, 0xbd5c1c4e
	;; [unrolled: 1-line block ×4, first 2 shown]
	v_mul_f32_e64 v2, |v82|, v2
	v_fma_f32 v3, v1, v2, |v82|
.LBB5_21:                               ;   in Loop: Header=BB5_17 Depth=1
	s_or_b32 exec_lo, exec_lo, s18
	v_add_nc_u32_e32 v1, s6, v5
	v_cmp_ngt_f32_e64 s18, 0x3f200000, |v83|
                                        ; implicit-def: $vgpr4
	v_ashrrev_i32_e32 v2, 31, v1
	v_lshlrev_b64 v[1:2], 1, v[1:2]
	v_add_co_u32 v1, vcc_lo, s34, v1
	v_add_co_ci_u32_e64 v2, null, s35, v2, vcc_lo
	global_load_ushort v92, v[1:2], off
	s_and_saveexec_b32 s19, s18
	s_xor_b32 s18, exec_lo, s19
	s_cbranch_execz .LBB5_23
; %bb.22:                               ;   in Loop: Header=BB5_17 Depth=1
	v_add_f32_e64 v4, |v83|, |v83|
	v_mul_f32_e32 v24, 0x3fb8aa3b, v4
	v_cmp_ngt_f32_e32 vcc_lo, 0xc2ce8ed0, v4
	v_rndne_f32_e32 v25, v24
	v_fma_f32 v26, 0x3fb8aa3b, v4, -v24
	v_sub_f32_e32 v24, v24, v25
	v_fmac_f32_e32 v26, 0x32a5705f, v4
	v_cvt_i32_f32_e32 v25, v25
	v_add_f32_e32 v24, v24, v26
	v_exp_f32_e32 v24, v24
	v_ldexp_f32 v24, v24, v25
	v_cndmask_b32_e32 v24, 0, v24, vcc_lo
	v_cmp_nlt_f32_e32 vcc_lo, 0x42b17218, v4
	v_cndmask_b32_e32 v4, 0x7f800000, v24, vcc_lo
	v_add_f32_e32 v4, 1.0, v4
	v_rcp_f32_e32 v4, v4
	v_fma_f32 v4, v4, -2.0, 1.0
.LBB5_23:                               ;   in Loop: Header=BB5_17 Depth=1
	s_andn2_saveexec_b32 s18, s18
	s_cbranch_execz .LBB5_25
; %bb.24:                               ;   in Loop: Header=BB5_17 Depth=1
	v_mul_f32_e32 v4, v83, v83
	v_fmaak_f32 v24, s15, v4, 0x3ca908c9
	v_fmaak_f32 v24, v4, v24, 0xbd5c1c4e
	;; [unrolled: 1-line block ×4, first 2 shown]
	v_mul_f32_e64 v24, |v83|, v24
	v_fma_f32 v4, v4, v24, |v83|
.LBB5_25:                               ;   in Loop: Header=BB5_17 Depth=1
	s_or_b32 exec_lo, exec_lo, s18
	global_load_ushort v93, v[1:2], off offset:64
	v_cmp_ngt_f32_e64 s18, 0x3f200000, |v84|
                                        ; implicit-def: $vgpr24
	s_and_saveexec_b32 s19, s18
	s_xor_b32 s18, exec_lo, s19
	s_cbranch_execz .LBB5_27
; %bb.26:                               ;   in Loop: Header=BB5_17 Depth=1
	v_add_f32_e64 v24, |v84|, |v84|
	v_mul_f32_e32 v25, 0x3fb8aa3b, v24
	v_cmp_ngt_f32_e32 vcc_lo, 0xc2ce8ed0, v24
	v_rndne_f32_e32 v26, v25
	v_fma_f32 v27, 0x3fb8aa3b, v24, -v25
	v_sub_f32_e32 v25, v25, v26
	v_fmac_f32_e32 v27, 0x32a5705f, v24
	v_cvt_i32_f32_e32 v26, v26
	v_add_f32_e32 v25, v25, v27
	v_exp_f32_e32 v25, v25
	v_ldexp_f32 v25, v25, v26
	v_cndmask_b32_e32 v25, 0, v25, vcc_lo
	v_cmp_nlt_f32_e32 vcc_lo, 0x42b17218, v24
	v_cndmask_b32_e32 v24, 0x7f800000, v25, vcc_lo
	v_add_f32_e32 v24, 1.0, v24
	v_rcp_f32_e32 v24, v24
	v_fma_f32 v24, v24, -2.0, 1.0
.LBB5_27:                               ;   in Loop: Header=BB5_17 Depth=1
	s_andn2_saveexec_b32 s18, s18
	s_cbranch_execz .LBB5_29
; %bb.28:                               ;   in Loop: Header=BB5_17 Depth=1
	v_mul_f32_e32 v24, v84, v84
	v_fmaak_f32 v25, s15, v24, 0x3ca908c9
	v_fmaak_f32 v25, v24, v25, 0xbd5c1c4e
	v_fmaak_f32 v25, v24, v25, 0x3e088382
	v_fmaak_f32 v25, v24, v25, 0xbeaaaa99
	v_mul_f32_e64 v25, |v84|, v25
	v_fma_f32 v24, v24, v25, |v84|
.LBB5_29:                               ;   in Loop: Header=BB5_17 Depth=1
	s_or_b32 exec_lo, exec_lo, s18
	global_load_ushort v94, v[1:2], off offset:128
	v_cmp_ngt_f32_e64 s18, 0x3f200000, |v85|
                                        ; implicit-def: $vgpr25
	s_and_saveexec_b32 s19, s18
	s_xor_b32 s18, exec_lo, s19
	s_cbranch_execz .LBB5_31
; %bb.30:                               ;   in Loop: Header=BB5_17 Depth=1
	v_add_f32_e64 v25, |v85|, |v85|
	v_mul_f32_e32 v26, 0x3fb8aa3b, v25
	v_cmp_ngt_f32_e32 vcc_lo, 0xc2ce8ed0, v25
	v_rndne_f32_e32 v27, v26
	v_fma_f32 v86, 0x3fb8aa3b, v25, -v26
	v_sub_f32_e32 v26, v26, v27
	v_fmac_f32_e32 v86, 0x32a5705f, v25
	v_cvt_i32_f32_e32 v27, v27
	v_add_f32_e32 v26, v26, v86
	v_exp_f32_e32 v26, v26
	v_ldexp_f32 v26, v26, v27
	v_cndmask_b32_e32 v26, 0, v26, vcc_lo
	v_cmp_nlt_f32_e32 vcc_lo, 0x42b17218, v25
	v_cndmask_b32_e32 v25, 0x7f800000, v26, vcc_lo
	v_add_f32_e32 v25, 1.0, v25
	v_rcp_f32_e32 v25, v25
	v_fma_f32 v25, v25, -2.0, 1.0
.LBB5_31:                               ;   in Loop: Header=BB5_17 Depth=1
	s_andn2_saveexec_b32 s18, s18
	s_cbranch_execz .LBB5_33
; %bb.32:                               ;   in Loop: Header=BB5_17 Depth=1
	v_mul_f32_e32 v25, v85, v85
	v_fmaak_f32 v26, s15, v25, 0x3ca908c9
	v_fmaak_f32 v26, v25, v26, 0xbd5c1c4e
	;; [unrolled: 1-line block ×4, first 2 shown]
	v_mul_f32_e64 v26, |v85|, v26
	v_fma_f32 v25, v25, v26, |v85|
.LBB5_33:                               ;   in Loop: Header=BB5_17 Depth=1
	s_or_b32 exec_lo, exec_lo, s18
	global_load_ushort v95, v[1:2], off offset:192
	v_bfi_b32 v1, 0x7fffffff, v3, v82
	v_bfi_b32 v2, 0x7fffffff, v4, v83
	;; [unrolled: 1-line block ×3, first 2 shown]
	v_xor_b32_e32 v82, 16, v31
	v_xor_b32_e32 v27, 8, v31
	s_waitcnt vmcnt(3)
	v_fma_mix_f32 v86, s14, v1, v92 op_sel_hi:[0,0,1]
	s_waitcnt vmcnt(2)
	v_fma_mix_f32 v87, s14, v2, v93 op_sel_hi:[0,0,1]
	v_bfi_b32 v1, 0x7fffffff, v24, v84
	v_cmp_gt_i32_e32 vcc_lo, 32, v82
	v_xor_b32_e32 v26, 4, v31
	v_add_f32_e32 v2, 0x40051340, v86
	v_add_f32_e32 v4, 0x40051340, v87
	s_waitcnt vmcnt(1)
	v_fma_mix_f32 v89, s14, v1, v94 op_sel_hi:[0,0,1]
	v_cndmask_b32_e32 v1, v31, v82, vcc_lo
	v_cmp_gt_i32_e32 vcc_lo, 32, v27
	v_xor_b32_e32 v25, 2, v31
	v_max3_f32 v2, v69, v2, v4
	v_xor_b32_e32 v24, 1, v31
	v_lshlrev_b32_e32 v1, 2, v1
	v_cmp_ngt_f32_e64 s18, 0x3f200000, |v78|
                                        ; implicit-def: $vgpr84
	s_waitcnt vmcnt(0)
	v_fma_mix_f32 v90, s14, v3, v95 op_sel_hi:[0,0,1]
	v_add_f32_e32 v3, 0x40051340, v89
	v_add_f32_e32 v4, 0x40051340, v90
	v_max3_f32 v2, v2, v3, v4
	v_cndmask_b32_e32 v4, v31, v27, vcc_lo
	v_cmp_gt_i32_e32 vcc_lo, 32, v26
	ds_bpermute_b32 v3, v1, v2
	v_lshlrev_b32_e32 v91, 2, v4
	v_cndmask_b32_e32 v4, v31, v26, vcc_lo
	v_cmp_gt_i32_e32 vcc_lo, 32, v25
	v_lshlrev_b32_e32 v88, 2, v4
	v_cndmask_b32_e32 v4, v31, v25, vcc_lo
	v_cmp_gt_i32_e32 vcc_lo, 32, v24
	v_lshlrev_b32_e32 v83, 2, v4
	v_cndmask_b32_e32 v4, v31, v24, vcc_lo
	v_lshlrev_b32_e32 v4, 2, v4
	s_waitcnt lgkmcnt(0)
	v_max_f32_e32 v3, v3, v3
	v_max_f32_e32 v2, v2, v3
	ds_bpermute_b32 v3, v91, v2
	s_waitcnt lgkmcnt(0)
	v_max_f32_e32 v3, v3, v3
	v_max_f32_e32 v2, v2, v3
	ds_bpermute_b32 v3, v88, v2
	;; [unrolled: 4-line block ×4, first 2 shown]
	s_and_saveexec_b32 s19, s18
	s_xor_b32 s18, exec_lo, s19
	s_cbranch_execz .LBB5_35
; %bb.34:                               ;   in Loop: Header=BB5_17 Depth=1
	v_add_f32_e64 v84, |v78|, |v78|
	v_mul_f32_e32 v85, 0x3fb8aa3b, v84
	v_cmp_ngt_f32_e32 vcc_lo, 0xc2ce8ed0, v84
	v_rndne_f32_e32 v96, v85
	v_fma_f32 v97, 0x3fb8aa3b, v84, -v85
	v_sub_f32_e32 v85, v85, v96
	v_fmac_f32_e32 v97, 0x32a5705f, v84
	v_cvt_i32_f32_e32 v96, v96
	v_add_f32_e32 v85, v85, v97
	v_exp_f32_e32 v85, v85
	v_ldexp_f32 v85, v85, v96
	v_cndmask_b32_e32 v85, 0, v85, vcc_lo
	v_cmp_nlt_f32_e32 vcc_lo, 0x42b17218, v84
	v_cndmask_b32_e32 v84, 0x7f800000, v85, vcc_lo
	v_add_f32_e32 v84, 1.0, v84
	v_rcp_f32_e32 v84, v84
	v_fma_f32 v84, v84, -2.0, 1.0
.LBB5_35:                               ;   in Loop: Header=BB5_17 Depth=1
	s_andn2_saveexec_b32 s18, s18
	s_cbranch_execz .LBB5_37
; %bb.36:                               ;   in Loop: Header=BB5_17 Depth=1
	v_mul_f32_e32 v84, v78, v78
	v_fmaak_f32 v85, s15, v84, 0x3ca908c9
	v_fmaak_f32 v85, v84, v85, 0xbd5c1c4e
	;; [unrolled: 1-line block ×4, first 2 shown]
	v_mul_f32_e64 v85, |v78|, v85
	v_fma_f32 v84, v84, v85, |v78|
.LBB5_37:                               ;   in Loop: Header=BB5_17 Depth=1
	s_or_b32 exec_lo, exec_lo, s18
	v_cmp_ngt_f32_e64 s18, 0x3f200000, |v79|
                                        ; implicit-def: $vgpr96
	s_and_saveexec_b32 s19, s18
	s_xor_b32 s18, exec_lo, s19
	s_cbranch_execz .LBB5_39
; %bb.38:                               ;   in Loop: Header=BB5_17 Depth=1
	v_add_f32_e64 v85, |v79|, |v79|
	v_mul_f32_e32 v96, 0x3fb8aa3b, v85
	v_cmp_ngt_f32_e32 vcc_lo, 0xc2ce8ed0, v85
	v_rndne_f32_e32 v97, v96
	v_fma_f32 v98, 0x3fb8aa3b, v85, -v96
	v_sub_f32_e32 v96, v96, v97
	v_fmac_f32_e32 v98, 0x32a5705f, v85
	v_cvt_i32_f32_e32 v97, v97
	v_add_f32_e32 v96, v96, v98
	v_exp_f32_e32 v96, v96
	v_ldexp_f32 v96, v96, v97
	v_cndmask_b32_e32 v96, 0, v96, vcc_lo
	v_cmp_nlt_f32_e32 vcc_lo, 0x42b17218, v85
	v_cndmask_b32_e32 v85, 0x7f800000, v96, vcc_lo
	v_add_f32_e32 v85, 1.0, v85
	v_rcp_f32_e32 v85, v85
	v_fma_f32 v96, v85, -2.0, 1.0
.LBB5_39:                               ;   in Loop: Header=BB5_17 Depth=1
	s_andn2_saveexec_b32 s18, s18
	s_cbranch_execz .LBB5_41
; %bb.40:                               ;   in Loop: Header=BB5_17 Depth=1
	v_mul_f32_e32 v85, v79, v79
	v_fmaak_f32 v96, s15, v85, 0x3ca908c9
	v_fmaak_f32 v96, v85, v96, 0xbd5c1c4e
	;; [unrolled: 1-line block ×4, first 2 shown]
	v_mul_f32_e64 v96, |v79|, v96
	v_fma_f32 v96, v85, v96, |v79|
.LBB5_41:                               ;   in Loop: Header=BB5_17 Depth=1
	s_or_b32 exec_lo, exec_lo, s18
	v_cmp_ngt_f32_e64 s18, 0x3f200000, |v80|
                                        ; implicit-def: $vgpr97
	s_and_saveexec_b32 s19, s18
	s_xor_b32 s18, exec_lo, s19
	s_cbranch_execz .LBB5_43
; %bb.42:                               ;   in Loop: Header=BB5_17 Depth=1
	v_add_f32_e64 v85, |v80|, |v80|
	v_mul_f32_e32 v97, 0x3fb8aa3b, v85
	v_cmp_ngt_f32_e32 vcc_lo, 0xc2ce8ed0, v85
	v_rndne_f32_e32 v98, v97
	v_fma_f32 v99, 0x3fb8aa3b, v85, -v97
	v_sub_f32_e32 v97, v97, v98
	v_fmac_f32_e32 v99, 0x32a5705f, v85
	v_cvt_i32_f32_e32 v98, v98
	v_add_f32_e32 v97, v97, v99
	v_exp_f32_e32 v97, v97
	v_ldexp_f32 v97, v97, v98
	v_cndmask_b32_e32 v97, 0, v97, vcc_lo
	v_cmp_nlt_f32_e32 vcc_lo, 0x42b17218, v85
	v_cndmask_b32_e32 v85, 0x7f800000, v97, vcc_lo
	v_add_f32_e32 v85, 1.0, v85
	v_rcp_f32_e32 v85, v85
	v_fma_f32 v97, v85, -2.0, 1.0
.LBB5_43:                               ;   in Loop: Header=BB5_17 Depth=1
	s_andn2_saveexec_b32 s18, s18
	s_cbranch_execz .LBB5_45
; %bb.44:                               ;   in Loop: Header=BB5_17 Depth=1
	v_mul_f32_e32 v85, v80, v80
	v_fmaak_f32 v97, s15, v85, 0x3ca908c9
	v_fmaak_f32 v97, v85, v97, 0xbd5c1c4e
	;; [unrolled: 1-line block ×4, first 2 shown]
	v_mul_f32_e64 v97, |v80|, v97
	v_fma_f32 v97, v85, v97, |v80|
.LBB5_45:                               ;   in Loop: Header=BB5_17 Depth=1
	s_or_b32 exec_lo, exec_lo, s18
	v_cmp_ngt_f32_e64 s18, 0x3f200000, |v81|
                                        ; implicit-def: $vgpr98
	s_and_saveexec_b32 s19, s18
	s_xor_b32 s18, exec_lo, s19
	s_cbranch_execz .LBB5_47
; %bb.46:                               ;   in Loop: Header=BB5_17 Depth=1
	v_add_f32_e64 v85, |v81|, |v81|
	v_mul_f32_e32 v98, 0x3fb8aa3b, v85
	v_cmp_ngt_f32_e32 vcc_lo, 0xc2ce8ed0, v85
	v_rndne_f32_e32 v99, v98
	v_fma_f32 v100, 0x3fb8aa3b, v85, -v98
	v_sub_f32_e32 v98, v98, v99
	v_fmac_f32_e32 v100, 0x32a5705f, v85
	v_cvt_i32_f32_e32 v99, v99
	v_add_f32_e32 v98, v98, v100
	v_exp_f32_e32 v98, v98
	v_ldexp_f32 v98, v98, v99
	v_cndmask_b32_e32 v98, 0, v98, vcc_lo
	v_cmp_nlt_f32_e32 vcc_lo, 0x42b17218, v85
	v_cndmask_b32_e32 v85, 0x7f800000, v98, vcc_lo
	v_add_f32_e32 v85, 1.0, v85
	v_rcp_f32_e32 v85, v85
	v_fma_f32 v98, v85, -2.0, 1.0
.LBB5_47:                               ;   in Loop: Header=BB5_17 Depth=1
	s_andn2_saveexec_b32 s18, s18
	s_cbranch_execz .LBB5_49
; %bb.48:                               ;   in Loop: Header=BB5_17 Depth=1
	v_mul_f32_e32 v85, v81, v81
	v_fmaak_f32 v98, s15, v85, 0x3ca908c9
	v_fmaak_f32 v98, v85, v98, 0xbd5c1c4e
	;; [unrolled: 1-line block ×4, first 2 shown]
	v_mul_f32_e64 v98, |v81|, v98
	v_fma_f32 v98, v85, v98, |v81|
.LBB5_49:                               ;   in Loop: Header=BB5_17 Depth=1
	s_or_b32 exec_lo, exec_lo, s18
	v_cvt_f32_f16_e32 v85, v92
	v_bfi_b32 v92, 0x7fffffff, v84, v78
	v_cvt_f32_f16_e32 v84, v93
	v_bfi_b32 v93, 0x7fffffff, v96, v79
	v_cvt_f32_f16_e32 v79, v94
	v_cvt_f32_f16_e32 v78, v95
	v_fma_f32 v92, s14, v92, v85
	v_bfi_b32 v80, 0x7fffffff, v97, v80
	v_fma_f32 v93, s14, v93, v84
	v_bfi_b32 v94, 0x7fffffff, v98, v81
	v_cmp_ngt_f32_e64 s18, 0x3f200000, |v74|
	v_add_f32_e32 v95, 0x40051340, v92
	v_fma_f32 v81, s14, v80, v79
	v_add_f32_e32 v96, 0x40051340, v93
	v_fma_f32 v80, s14, v94, v78
	v_add_f32_e32 v94, 0x40051340, v81
	v_max3_f32 v95, v67, v95, v96
	v_add_f32_e32 v96, 0x40051340, v80
	v_max3_f32 v94, v95, v94, v96
	ds_bpermute_b32 v95, v1, v94
	s_waitcnt lgkmcnt(0)
	v_max_f32_e32 v95, v95, v95
	v_max_f32_e32 v94, v94, v95
	ds_bpermute_b32 v95, v91, v94
	s_waitcnt lgkmcnt(0)
	v_max_f32_e32 v95, v95, v95
	v_max_f32_e32 v94, v94, v95
	;; [unrolled: 4-line block ×4, first 2 shown]
                                        ; implicit-def: $vgpr94
	ds_bpermute_b32 v96, v4, v95
	s_and_saveexec_b32 s19, s18
	s_xor_b32 s18, exec_lo, s19
	s_cbranch_execz .LBB5_51
; %bb.50:                               ;   in Loop: Header=BB5_17 Depth=1
	v_add_f32_e64 v94, |v74|, |v74|
	v_mul_f32_e32 v97, 0x3fb8aa3b, v94
	v_cmp_ngt_f32_e32 vcc_lo, 0xc2ce8ed0, v94
	v_rndne_f32_e32 v98, v97
	v_fma_f32 v99, 0x3fb8aa3b, v94, -v97
	v_sub_f32_e32 v97, v97, v98
	v_fmac_f32_e32 v99, 0x32a5705f, v94
	v_cvt_i32_f32_e32 v98, v98
	v_add_f32_e32 v97, v97, v99
	v_exp_f32_e32 v97, v97
	v_ldexp_f32 v97, v97, v98
	v_cndmask_b32_e32 v97, 0, v97, vcc_lo
	v_cmp_nlt_f32_e32 vcc_lo, 0x42b17218, v94
	v_cndmask_b32_e32 v94, 0x7f800000, v97, vcc_lo
	v_add_f32_e32 v94, 1.0, v94
	v_rcp_f32_e32 v94, v94
	v_fma_f32 v94, v94, -2.0, 1.0
.LBB5_51:                               ;   in Loop: Header=BB5_17 Depth=1
	s_andn2_saveexec_b32 s18, s18
	s_cbranch_execz .LBB5_53
; %bb.52:                               ;   in Loop: Header=BB5_17 Depth=1
	v_mul_f32_e32 v94, v74, v74
	v_fmaak_f32 v97, s15, v94, 0x3ca908c9
	v_fmaak_f32 v97, v94, v97, 0xbd5c1c4e
	v_fmaak_f32 v97, v94, v97, 0x3e088382
	v_fmaak_f32 v97, v94, v97, 0xbeaaaa99
	v_mul_f32_e64 v97, |v74|, v97
	v_fma_f32 v94, v94, v97, |v74|
.LBB5_53:                               ;   in Loop: Header=BB5_17 Depth=1
	s_or_b32 exec_lo, exec_lo, s18
	v_cmp_ngt_f32_e64 s18, 0x3f200000, |v75|
                                        ; implicit-def: $vgpr97
	s_and_saveexec_b32 s19, s18
	s_xor_b32 s18, exec_lo, s19
	s_cbranch_execz .LBB5_55
; %bb.54:                               ;   in Loop: Header=BB5_17 Depth=1
	v_add_f32_e64 v97, |v75|, |v75|
	v_mul_f32_e32 v98, 0x3fb8aa3b, v97
	v_cmp_ngt_f32_e32 vcc_lo, 0xc2ce8ed0, v97
	v_rndne_f32_e32 v99, v98
	v_fma_f32 v100, 0x3fb8aa3b, v97, -v98
	v_sub_f32_e32 v98, v98, v99
	v_fmac_f32_e32 v100, 0x32a5705f, v97
	v_cvt_i32_f32_e32 v99, v99
	v_add_f32_e32 v98, v98, v100
	v_exp_f32_e32 v98, v98
	v_ldexp_f32 v98, v98, v99
	v_cndmask_b32_e32 v98, 0, v98, vcc_lo
	v_cmp_nlt_f32_e32 vcc_lo, 0x42b17218, v97
	v_cndmask_b32_e32 v97, 0x7f800000, v98, vcc_lo
	v_add_f32_e32 v97, 1.0, v97
	v_rcp_f32_e32 v97, v97
	v_fma_f32 v97, v97, -2.0, 1.0
.LBB5_55:                               ;   in Loop: Header=BB5_17 Depth=1
	s_andn2_saveexec_b32 s18, s18
	s_cbranch_execz .LBB5_57
; %bb.56:                               ;   in Loop: Header=BB5_17 Depth=1
	v_mul_f32_e32 v97, v75, v75
	v_fmaak_f32 v98, s15, v97, 0x3ca908c9
	v_fmaak_f32 v98, v97, v98, 0xbd5c1c4e
	;; [unrolled: 1-line block ×4, first 2 shown]
	v_mul_f32_e64 v98, |v75|, v98
	v_fma_f32 v97, v97, v98, |v75|
.LBB5_57:                               ;   in Loop: Header=BB5_17 Depth=1
	s_or_b32 exec_lo, exec_lo, s18
	v_cmp_ngt_f32_e64 s18, 0x3f200000, |v76|
                                        ; implicit-def: $vgpr98
	s_and_saveexec_b32 s19, s18
	s_xor_b32 s18, exec_lo, s19
	s_cbranch_execz .LBB5_59
; %bb.58:                               ;   in Loop: Header=BB5_17 Depth=1
	v_add_f32_e64 v98, |v76|, |v76|
	v_mul_f32_e32 v99, 0x3fb8aa3b, v98
	v_cmp_ngt_f32_e32 vcc_lo, 0xc2ce8ed0, v98
	v_rndne_f32_e32 v100, v99
	v_fma_f32 v101, 0x3fb8aa3b, v98, -v99
	v_sub_f32_e32 v99, v99, v100
	v_fmac_f32_e32 v101, 0x32a5705f, v98
	v_cvt_i32_f32_e32 v100, v100
	v_add_f32_e32 v99, v99, v101
	v_exp_f32_e32 v99, v99
	v_ldexp_f32 v99, v99, v100
	v_cndmask_b32_e32 v99, 0, v99, vcc_lo
	v_cmp_nlt_f32_e32 vcc_lo, 0x42b17218, v98
	v_cndmask_b32_e32 v98, 0x7f800000, v99, vcc_lo
	v_add_f32_e32 v98, 1.0, v98
	v_rcp_f32_e32 v98, v98
	v_fma_f32 v98, v98, -2.0, 1.0
.LBB5_59:                               ;   in Loop: Header=BB5_17 Depth=1
	s_andn2_saveexec_b32 s18, s18
	s_cbranch_execz .LBB5_61
; %bb.60:                               ;   in Loop: Header=BB5_17 Depth=1
	v_mul_f32_e32 v98, v76, v76
	v_fmaak_f32 v99, s15, v98, 0x3ca908c9
	v_fmaak_f32 v99, v98, v99, 0xbd5c1c4e
	;; [unrolled: 1-line block ×4, first 2 shown]
	v_mul_f32_e64 v99, |v76|, v99
	v_fma_f32 v98, v98, v99, |v76|
.LBB5_61:                               ;   in Loop: Header=BB5_17 Depth=1
	s_or_b32 exec_lo, exec_lo, s18
	v_cmp_ngt_f32_e64 s18, 0x3f200000, |v77|
                                        ; implicit-def: $vgpr99
	s_and_saveexec_b32 s19, s18
	s_xor_b32 s18, exec_lo, s19
	s_cbranch_execz .LBB5_63
; %bb.62:                               ;   in Loop: Header=BB5_17 Depth=1
	v_add_f32_e64 v99, |v77|, |v77|
	v_mul_f32_e32 v100, 0x3fb8aa3b, v99
	v_cmp_ngt_f32_e32 vcc_lo, 0xc2ce8ed0, v99
	v_rndne_f32_e32 v101, v100
	v_fma_f32 v102, 0x3fb8aa3b, v99, -v100
	v_sub_f32_e32 v100, v100, v101
	v_fmac_f32_e32 v102, 0x32a5705f, v99
	v_cvt_i32_f32_e32 v101, v101
	v_add_f32_e32 v100, v100, v102
	v_exp_f32_e32 v100, v100
	v_ldexp_f32 v100, v100, v101
	v_cndmask_b32_e32 v100, 0, v100, vcc_lo
	v_cmp_nlt_f32_e32 vcc_lo, 0x42b17218, v99
	v_cndmask_b32_e32 v99, 0x7f800000, v100, vcc_lo
	v_add_f32_e32 v99, 1.0, v99
	v_rcp_f32_e32 v99, v99
	v_fma_f32 v99, v99, -2.0, 1.0
.LBB5_63:                               ;   in Loop: Header=BB5_17 Depth=1
	s_andn2_saveexec_b32 s18, s18
	s_cbranch_execz .LBB5_65
; %bb.64:                               ;   in Loop: Header=BB5_17 Depth=1
	v_mul_f32_e32 v99, v77, v77
	v_fmaak_f32 v100, s15, v99, 0x3ca908c9
	v_fmaak_f32 v100, v99, v100, 0xbd5c1c4e
	;; [unrolled: 1-line block ×4, first 2 shown]
	v_mul_f32_e64 v100, |v77|, v100
	v_fma_f32 v99, v99, v100, |v77|
.LBB5_65:                               ;   in Loop: Header=BB5_17 Depth=1
	s_or_b32 exec_lo, exec_lo, s18
	v_bfi_b32 v74, 0x7fffffff, v94, v74
	v_bfi_b32 v75, 0x7fffffff, v97, v75
	;; [unrolled: 1-line block ×3, first 2 shown]
	v_cmp_ngt_f32_e64 s18, 0x3f200000, |v70|
	v_fma_f32 v94, s14, v74, v85
	v_fma_f32 v76, s14, v75, v84
	v_bfi_b32 v74, 0x7fffffff, v99, v77
	v_fma_f32 v75, s14, v97, v79
	v_add_f32_e32 v77, 0x40051340, v94
	v_add_f32_e32 v97, 0x40051340, v76
	v_fma_f32 v74, s14, v74, v78
	v_add_f32_e32 v98, 0x40051340, v75
	v_max3_f32 v77, v65, v77, v97
	v_add_f32_e32 v97, 0x40051340, v74
	v_max3_f32 v77, v77, v98, v97
                                        ; implicit-def: $vgpr98
	ds_bpermute_b32 v97, v1, v77
	s_waitcnt lgkmcnt(0)
	v_max_f32_e32 v97, v97, v97
	v_max_f32_e32 v77, v77, v97
	ds_bpermute_b32 v97, v91, v77
	s_waitcnt lgkmcnt(0)
	v_max_f32_e32 v97, v97, v97
	v_max_f32_e32 v77, v77, v97
	;; [unrolled: 4-line block ×4, first 2 shown]
	ds_bpermute_b32 v97, v4, v77
	s_and_saveexec_b32 s19, s18
	s_xor_b32 s18, exec_lo, s19
	s_cbranch_execz .LBB5_67
; %bb.66:                               ;   in Loop: Header=BB5_17 Depth=1
	v_add_f32_e64 v98, |v70|, |v70|
	v_mul_f32_e32 v99, 0x3fb8aa3b, v98
	v_cmp_ngt_f32_e32 vcc_lo, 0xc2ce8ed0, v98
	v_rndne_f32_e32 v100, v99
	v_fma_f32 v101, 0x3fb8aa3b, v98, -v99
	v_sub_f32_e32 v99, v99, v100
	v_fmac_f32_e32 v101, 0x32a5705f, v98
	v_cvt_i32_f32_e32 v100, v100
	v_add_f32_e32 v99, v99, v101
	v_exp_f32_e32 v99, v99
	v_ldexp_f32 v99, v99, v100
	v_cndmask_b32_e32 v99, 0, v99, vcc_lo
	v_cmp_nlt_f32_e32 vcc_lo, 0x42b17218, v98
	v_cndmask_b32_e32 v98, 0x7f800000, v99, vcc_lo
	v_add_f32_e32 v98, 1.0, v98
	v_rcp_f32_e32 v98, v98
	v_fma_f32 v98, v98, -2.0, 1.0
.LBB5_67:                               ;   in Loop: Header=BB5_17 Depth=1
	s_andn2_saveexec_b32 s18, s18
	s_cbranch_execz .LBB5_69
; %bb.68:                               ;   in Loop: Header=BB5_17 Depth=1
	v_mul_f32_e32 v98, v70, v70
	v_fmaak_f32 v99, s15, v98, 0x3ca908c9
	v_fmaak_f32 v99, v98, v99, 0xbd5c1c4e
	;; [unrolled: 1-line block ×4, first 2 shown]
	v_mul_f32_e64 v99, |v70|, v99
	v_fma_f32 v98, v98, v99, |v70|
.LBB5_69:                               ;   in Loop: Header=BB5_17 Depth=1
	s_or_b32 exec_lo, exec_lo, s18
	v_cmp_ngt_f32_e64 s18, 0x3f200000, |v71|
                                        ; implicit-def: $vgpr99
	s_and_saveexec_b32 s19, s18
	s_xor_b32 s18, exec_lo, s19
	s_cbranch_execz .LBB5_71
; %bb.70:                               ;   in Loop: Header=BB5_17 Depth=1
	v_add_f32_e64 v99, |v71|, |v71|
	v_mul_f32_e32 v100, 0x3fb8aa3b, v99
	v_cmp_ngt_f32_e32 vcc_lo, 0xc2ce8ed0, v99
	v_rndne_f32_e32 v101, v100
	v_fma_f32 v102, 0x3fb8aa3b, v99, -v100
	v_sub_f32_e32 v100, v100, v101
	v_fmac_f32_e32 v102, 0x32a5705f, v99
	v_cvt_i32_f32_e32 v101, v101
	v_add_f32_e32 v100, v100, v102
	v_exp_f32_e32 v100, v100
	v_ldexp_f32 v100, v100, v101
	v_cndmask_b32_e32 v100, 0, v100, vcc_lo
	v_cmp_nlt_f32_e32 vcc_lo, 0x42b17218, v99
	v_cndmask_b32_e32 v99, 0x7f800000, v100, vcc_lo
	v_add_f32_e32 v99, 1.0, v99
	v_rcp_f32_e32 v99, v99
	v_fma_f32 v99, v99, -2.0, 1.0
.LBB5_71:                               ;   in Loop: Header=BB5_17 Depth=1
	s_andn2_saveexec_b32 s18, s18
	s_cbranch_execz .LBB5_73
; %bb.72:                               ;   in Loop: Header=BB5_17 Depth=1
	v_mul_f32_e32 v99, v71, v71
	v_fmaak_f32 v100, s15, v99, 0x3ca908c9
	v_fmaak_f32 v100, v99, v100, 0xbd5c1c4e
	;; [unrolled: 1-line block ×4, first 2 shown]
	v_mul_f32_e64 v100, |v71|, v100
	v_fma_f32 v99, v99, v100, |v71|
.LBB5_73:                               ;   in Loop: Header=BB5_17 Depth=1
	s_or_b32 exec_lo, exec_lo, s18
	v_cmp_ngt_f32_e64 s18, 0x3f200000, |v72|
                                        ; implicit-def: $vgpr100
	s_and_saveexec_b32 s19, s18
	s_xor_b32 s18, exec_lo, s19
	s_cbranch_execz .LBB5_75
; %bb.74:                               ;   in Loop: Header=BB5_17 Depth=1
	v_add_f32_e64 v100, |v72|, |v72|
	v_mul_f32_e32 v101, 0x3fb8aa3b, v100
	v_cmp_ngt_f32_e32 vcc_lo, 0xc2ce8ed0, v100
	v_rndne_f32_e32 v102, v101
	v_fma_f32 v103, 0x3fb8aa3b, v100, -v101
	v_sub_f32_e32 v101, v101, v102
	v_fmac_f32_e32 v103, 0x32a5705f, v100
	v_cvt_i32_f32_e32 v102, v102
	v_add_f32_e32 v101, v101, v103
	v_exp_f32_e32 v101, v101
	v_ldexp_f32 v101, v101, v102
	v_cndmask_b32_e32 v101, 0, v101, vcc_lo
	v_cmp_nlt_f32_e32 vcc_lo, 0x42b17218, v100
	v_cndmask_b32_e32 v100, 0x7f800000, v101, vcc_lo
	v_add_f32_e32 v100, 1.0, v100
	v_rcp_f32_e32 v100, v100
	v_fma_f32 v100, v100, -2.0, 1.0
.LBB5_75:                               ;   in Loop: Header=BB5_17 Depth=1
	s_andn2_saveexec_b32 s18, s18
	s_cbranch_execz .LBB5_77
; %bb.76:                               ;   in Loop: Header=BB5_17 Depth=1
	v_mul_f32_e32 v100, v72, v72
	v_fmaak_f32 v101, s15, v100, 0x3ca908c9
	v_fmaak_f32 v101, v100, v101, 0xbd5c1c4e
	;; [unrolled: 1-line block ×4, first 2 shown]
	v_mul_f32_e64 v101, |v72|, v101
	v_fma_f32 v100, v100, v101, |v72|
.LBB5_77:                               ;   in Loop: Header=BB5_17 Depth=1
	s_or_b32 exec_lo, exec_lo, s18
	v_cmp_ngt_f32_e64 s18, 0x3f200000, |v73|
                                        ; implicit-def: $vgpr101
	s_and_saveexec_b32 s19, s18
	s_xor_b32 s18, exec_lo, s19
	s_cbranch_execz .LBB5_79
; %bb.78:                               ;   in Loop: Header=BB5_17 Depth=1
	v_add_f32_e64 v101, |v73|, |v73|
	v_mul_f32_e32 v102, 0x3fb8aa3b, v101
	v_cmp_ngt_f32_e32 vcc_lo, 0xc2ce8ed0, v101
	v_rndne_f32_e32 v103, v102
	v_fma_f32 v104, 0x3fb8aa3b, v101, -v102
	v_sub_f32_e32 v102, v102, v103
	v_fmac_f32_e32 v104, 0x32a5705f, v101
	v_cvt_i32_f32_e32 v103, v103
	v_add_f32_e32 v102, v102, v104
	v_exp_f32_e32 v102, v102
	v_ldexp_f32 v102, v102, v103
	v_cndmask_b32_e32 v102, 0, v102, vcc_lo
	v_cmp_nlt_f32_e32 vcc_lo, 0x42b17218, v101
	v_cndmask_b32_e32 v101, 0x7f800000, v102, vcc_lo
	v_add_f32_e32 v101, 1.0, v101
	v_rcp_f32_e32 v101, v101
	v_fma_f32 v101, v101, -2.0, 1.0
.LBB5_79:                               ;   in Loop: Header=BB5_17 Depth=1
	s_andn2_saveexec_b32 s18, s18
	s_cbranch_execz .LBB5_81
; %bb.80:                               ;   in Loop: Header=BB5_17 Depth=1
	v_mul_f32_e32 v101, v73, v73
	v_fmaak_f32 v102, s15, v101, 0x3ca908c9
	v_fmaak_f32 v102, v101, v102, 0xbd5c1c4e
	v_fmaak_f32 v102, v101, v102, 0x3e088382
	v_fmaak_f32 v102, v101, v102, 0xbeaaaa99
	v_mul_f32_e64 v102, |v73|, v102
	v_fma_f32 v101, v101, v102, |v73|
.LBB5_81:                               ;   in Loop: Header=BB5_17 Depth=1
	s_or_b32 exec_lo, exec_lo, s18
	v_bfi_b32 v70, 0x7fffffff, v98, v70
	v_bfi_b32 v71, 0x7fffffff, v99, v71
	;; [unrolled: 1-line block ×4, first 2 shown]
	v_max_f32_e32 v98, v2, v2
	v_fmac_f32_e32 v85, s14, v70
	v_fmac_f32_e32 v84, s14, v71
	;; [unrolled: 1-line block ×4, first 2 shown]
	s_waitcnt lgkmcnt(0)
	v_max_f32_e32 v72, v97, v97
	v_add_f32_e32 v70, 0x40051340, v85
	v_add_f32_e32 v71, 0x40051340, v84
	v_max_f32_e32 v73, v77, v77
	v_add_f32_e32 v77, 0x40051340, v79
	v_add_f32_e32 v97, 0x40051340, v78
	s_mul_hi_i32 s19, s6, s8
	v_max3_f32 v70, v64, v70, v71
	v_max_f32_e32 v71, v96, v96
	v_max_f32_e32 v96, v3, v3
	s_mul_i32 s18, s6, s8
	v_max_f32_e32 v95, v95, v95
	v_max3_f32 v70, v70, v77, v97
	s_lshl_b64 s[18:19], s[18:19], 2
	v_max_f32_e32 v3, v73, v72
	s_add_u32 s18, s12, s18
	v_max_f32_e32 v2, v95, v71
	ds_bpermute_b32 v77, v1, v70
	v_max_f32_e32 v1, v98, v96
	s_addc_u32 s19, s13, s19
	v_add_co_u32 v71, vcc_lo, s18, v16
	v_add_co_ci_u32_e64 v72, null, s19, v17, vcc_lo
	v_sub_f32_e32 v110, v89, v1
	v_add_co_u32 v73, vcc_lo, s18, v18
	v_add_co_ci_u32_e64 v95, null, s19, v19, vcc_lo
	v_add_co_u32 v96, vcc_lo, s18, v20
	v_add_co_ci_u32_e64 v97, null, s19, v21, vcc_lo
	v_add_co_u32 v98, vcc_lo, s18, v22
	v_add_co_ci_u32_e64 v99, null, s19, v23, vcc_lo
	s_waitcnt lgkmcnt(0)
	v_max_f32_e32 v77, v77, v77
	v_sub_f32_e32 v107, v69, v1
	v_add_co_u32 v69, vcc_lo, v71, v37
	v_sub_f32_e32 v108, v86, v1
	v_max_f32_e32 v77, v70, v77
	v_add_co_ci_u32_e64 v70, null, 0, v72, vcc_lo
	v_add_co_u32 v71, vcc_lo, v73, v37
	ds_bpermute_b32 v89, v91, v77
	v_add_co_ci_u32_e64 v72, null, 0, v95, vcc_lo
	v_add_co_u32 v86, vcc_lo, v96, v37
	v_sub_f32_e32 v109, v87, v1
	v_add_co_ci_u32_e64 v87, null, 0, v97, vcc_lo
	v_add_co_u32 v103, vcc_lo, v98, v37
	v_add_co_ci_u32_e64 v104, null, 0, v99, vcc_lo
	s_waitcnt lgkmcnt(0)
	s_barrier
	buffer_gl0_inv
	v_sub_f32_e32 v111, v90, v1
	v_sub_f32_e32 v112, v92, v2
	v_mul_f32_e32 v113, 0x3fb8aa3b, v108
	v_mul_f32_e32 v114, 0x3fb8aa3b, v109
	;; [unrolled: 1-line block ×3, first 2 shown]
	v_max_f32_e32 v73, v89, v89
	s_clause 0x3
	global_load_dwordx4 v[89:92], v[69:70], off
	global_load_dwordx4 v[95:98], v[71:72], off
	;; [unrolled: 1-line block ×4, first 2 shown]
	v_fma_f32 v70, 0x3fb8aa3b, v108, -v113
	v_rndne_f32_e32 v71, v113
	v_max_f32_e32 v73, v77, v73
	v_fma_f32 v72, 0x3fb8aa3b, v109, -v114
	v_rndne_f32_e32 v86, v114
	v_fmac_f32_e32 v70, 0x32a5705f, v108
	v_sub_f32_e32 v113, v113, v71
	ds_bpermute_b32 v69, v88, v73
	v_mul_f32_e32 v116, 0x3fb8aa3b, v111
	v_mul_f32_e32 v77, 0x3fb8aa3b, v107
	v_fma_f32 v87, 0x3fb8aa3b, v110, -v115
	v_rndne_f32_e32 v88, v115
	v_fmac_f32_e32 v72, 0x32a5705f, v109
	v_sub_f32_e32 v114, v114, v86
	v_add_f32_e32 v70, v113, v70
	v_fma_f32 v118, 0x3fb8aa3b, v111, -v116
	v_rndne_f32_e32 v119, v116
	v_rndne_f32_e32 v121, v77
	v_fmac_f32_e32 v87, 0x32a5705f, v110
	v_sub_f32_e32 v115, v115, v88
	v_add_f32_e32 v72, v114, v72
	v_exp_f32_e32 v70, v70
	v_fma_f32 v120, 0x3fb8aa3b, v107, -v77
	v_cvt_i32_f32_e32 v71, v71
	v_fmac_f32_e32 v118, 0x32a5705f, v111
	v_sub_f32_e32 v116, v116, v119
	v_exp_f32_e32 v72, v72
	s_waitcnt lgkmcnt(0)
	v_max_f32_e32 v69, v69, v69
	v_fmac_f32_e32 v120, 0x32a5705f, v107
	v_cvt_i32_f32_e32 v86, v86
	v_cmp_ngt_f32_e32 vcc_lo, 0xc2ce8ed0, v108
	v_ldexp_f32 v70, v70, v71
	v_max_f32_e32 v69, v73, v69
	v_sub_f32_e32 v73, v77, v121
	v_add_f32_e32 v77, v115, v87
	v_add_f32_e32 v87, v116, v118
	v_cvt_i32_f32_e32 v88, v88
	v_ldexp_f32 v71, v72, v86
	v_add_f32_e32 v73, v73, v120
	v_exp_f32_e32 v77, v77
	v_exp_f32_e32 v87, v87
	v_cndmask_b32_e32 v70, 0, v70, vcc_lo
	v_cmp_ngt_f32_e32 vcc_lo, 0xc2ce8ed0, v109
	v_exp_f32_e32 v73, v73
	v_cvt_i32_f32_e32 v113, v119
	ds_bpermute_b32 v83, v83, v69
	v_cvt_i32_f32_e32 v114, v121
	v_cndmask_b32_e32 v71, 0, v71, vcc_lo
	v_cmp_ngt_f32_e32 vcc_lo, 0xc2ce8ed0, v110
	v_ldexp_f32 v72, v77, v88
	v_ldexp_f32 v77, v87, v113
	v_mul_f32_e32 v117, 0x3fb8aa3b, v112
	v_sub_f32_e32 v93, v93, v2
	v_ldexp_f32 v73, v73, v114
	v_cndmask_b32_e32 v72, 0, v72, vcc_lo
	v_cmp_ngt_f32_e32 vcc_lo, 0xc2ce8ed0, v111
	v_fma_f32 v122, 0x3fb8aa3b, v112, -v117
	v_rndne_f32_e32 v123, v117
	v_sub_f32_e32 v80, v80, v2
	v_sub_f32_e32 v67, v67, v2
	v_cndmask_b32_e32 v77, 0, v77, vcc_lo
	v_cmp_ngt_f32_e32 vcc_lo, 0xc2ce8ed0, v107
	v_fmac_f32_e32 v122, 0x32a5705f, v112
	v_sub_f32_e32 v86, v117, v123
	v_sub_f32_e32 v76, v76, v3
	s_waitcnt lgkmcnt(0)
	v_max_f32_e32 v83, v83, v83
	v_cndmask_b32_e32 v73, 0, v73, vcc_lo
	v_cmp_nlt_f32_e32 vcc_lo, 0x42b17218, v108
	v_add_f32_e32 v86, v86, v122
	v_sub_f32_e32 v75, v75, v3
	v_max_f32_e32 v69, v69, v83
	v_sub_f32_e32 v74, v74, v3
	v_cndmask_b32_e32 v70, 0x7f800000, v70, vcc_lo
	v_cmp_nlt_f32_e32 vcc_lo, 0x42b17218, v109
	v_sub_f32_e32 v65, v65, v3
	ds_bpermute_b32 v4, v4, v69
	s_or_b32 s18, s6, 32
	v_cvt_f16_f32_e32 v88, v70
	v_cndmask_b32_e32 v71, 0x7f800000, v71, vcc_lo
	v_cmp_nlt_f32_e32 vcc_lo, 0x42b17218, v110
	v_mul_f32_e32 v110, 0x3fb8aa3b, v67
	s_mul_hi_i32 s19, s18, s8
	s_mul_i32 s18, s18, s8
	v_add_f32_e32 v83, v70, v71
	v_cndmask_b32_e32 v72, 0x7f800000, v72, vcc_lo
	v_cmp_nlt_f32_e32 vcc_lo, 0x42b17218, v107
	v_cvt_f16_f32_e32 v107, v71
	s_lshl_b64 s[18:19], s[18:19], 2
	v_add_f32_e32 v83, v72, v83
	v_cndmask_b32_e32 v73, 0x7f800000, v73, vcc_lo
	v_cmp_nlt_f32_e32 vcc_lo, 0x42b17218, v111
	v_cvt_f16_f32_e32 v72, v72
	s_add_u32 s18, s12, s18
	s_addc_u32 s19, s13, s19
	v_cvt_f16_f32_e32 v87, v73
	v_cndmask_b32_e32 v77, 0x7f800000, v77, vcc_lo
	s_waitcnt lgkmcnt(0)
	v_max_f32_e32 v4, v4, v4
	v_cmp_ngt_f32_e32 vcc_lo, 0xc2ce8ed0, v112
	v_mul_u32_u24_sdwa v87, v87, v45 dst_sel:DWORD dst_unused:UNUSED_PAD src0_sel:WORD_0 src1_sel:DWORD
	v_add_f32_e32 v70, v77, v83
	v_max_f32_e32 v4, v69, v4
	v_cvt_i32_f32_e32 v83, v123
	v_cvt_f16_f32_e32 v77, v77
	v_pk_mul_f16 v108, v61, v87
	v_mul_f32_e32 v61, 0x3fb8aa3b, v93
	v_fmac_f32_e32 v70, v68, v73
	v_pk_mul_f16 v68, v59, v87
	v_sub_f32_e32 v59, v81, v2
	v_pk_mul_f16 v69, v60, v87
	v_fma_f32 v71, 0x3fb8aa3b, v93, -v61
	v_rndne_f32_e32 v73, v61
	v_exp_f32_e32 v60, v86
	v_mul_f32_e32 v81, 0x3fb8aa3b, v59
	v_sub_f32_e32 v84, v84, v4
	v_fmac_f32_e32 v71, 0x32a5705f, v93
	v_sub_f32_e32 v61, v61, v73
	v_cvt_i32_f32_e32 v73, v73
	v_fma_f32 v86, 0x3fb8aa3b, v59, -v81
	v_rndne_f32_e32 v109, v81
	v_sub_f32_e32 v79, v79, v4
	v_add_f32_e32 v61, v61, v71
	v_ldexp_f32 v60, v60, v83
	v_fmac_f32_e32 v86, 0x32a5705f, v59
	v_sub_f32_e32 v71, v81, v109
	v_mul_f32_e32 v81, 0x3fb8aa3b, v80
	v_exp_f32_e32 v61, v61
	v_cndmask_b32_e32 v60, 0, v60, vcc_lo
	v_cmp_nlt_f32_e32 vcc_lo, 0x42b17218, v112
	v_add_f32_e32 v71, v71, v86
	v_fma_f32 v83, 0x3fb8aa3b, v80, -v81
	v_rndne_f32_e32 v86, v81
	v_cndmask_b32_e32 v60, 0x7f800000, v60, vcc_lo
	v_exp_f32_e32 v71, v71
	v_fmac_f32_e32 v83, 0x32a5705f, v80
	v_sub_f32_e32 v81, v81, v86
	v_ldexp_f32 v61, v61, v73
	v_cmp_ngt_f32_e32 vcc_lo, 0xc2ce8ed0, v93
	v_cvt_i32_f32_e32 v73, v109
	v_rndne_f32_e32 v109, v110
	v_add_f32_e32 v81, v81, v83
	v_fma_f32 v83, 0x3fb8aa3b, v67, -v110
	v_cndmask_b32_e32 v61, 0, v61, vcc_lo
	v_cmp_nlt_f32_e32 vcc_lo, 0x42b17218, v93
	v_ldexp_f32 v71, v71, v73
	v_exp_f32_e32 v73, v81
	v_fmac_f32_e32 v83, 0x32a5705f, v67
	v_sub_f32_e32 v81, v110, v109
	v_cndmask_b32_e32 v61, 0x7f800000, v61, vcc_lo
	v_cmp_ngt_f32_e32 vcc_lo, 0xc2ce8ed0, v59
	v_cvt_i32_f32_e32 v86, v86
	v_cvt_f16_f32_e32 v111, v60
	v_add_f32_e32 v81, v81, v83
	v_add_f32_e32 v60, v60, v61
	v_cndmask_b32_e32 v71, 0, v71, vcc_lo
	v_cmp_nlt_f32_e32 vcc_lo, 0x42b17218, v59
	v_ldexp_f32 v73, v73, v86
	v_cvt_i32_f32_e32 v83, v109
	v_cvt_f16_f32_e32 v61, v61
	v_cndmask_b32_e32 v59, 0x7f800000, v71, vcc_lo
	v_exp_f32_e32 v71, v81
	v_sub_f32_e32 v81, v94, v3
	v_cmp_ngt_f32_e32 vcc_lo, 0xc2ce8ed0, v80
	v_add_f32_e32 v60, v59, v60
	v_mul_f32_e32 v86, 0x3fb8aa3b, v81
	v_cndmask_b32_e32 v73, 0, v73, vcc_lo
	v_cmp_nlt_f32_e32 vcc_lo, 0x42b17218, v80
	v_ldexp_f32 v80, v71, v83
	v_fma_f32 v83, 0x3fb8aa3b, v81, -v86
	v_rndne_f32_e32 v93, v86
	v_cndmask_b32_e32 v73, 0x7f800000, v73, vcc_lo
	v_cmp_ngt_f32_e32 vcc_lo, 0xc2ce8ed0, v67
	v_fmac_f32_e32 v83, 0x32a5705f, v81
	v_add_f32_e32 v71, v73, v60
	v_cndmask_b32_e32 v60, 0, v80, vcc_lo
	v_sub_f32_e32 v80, v86, v93
	v_cmp_nlt_f32_e32 vcc_lo, 0x42b17218, v67
	v_cvt_f16_f32_e32 v67, v59
	v_mul_f32_e32 v86, 0x3fb8aa3b, v75
	v_cvt_f16_f32_e32 v73, v73
	v_add_f32_e32 v59, v80, v83
	v_cndmask_b32_e32 v60, 0x7f800000, v60, vcc_lo
	v_mul_f32_e32 v80, 0x3fb8aa3b, v76
	v_cmp_ngt_f32_e32 vcc_lo, 0xc2ce8ed0, v81
	v_exp_f32_e32 v59, v59
	v_fmac_f32_e32 v71, v66, v60
	v_cvt_f16_f32_e32 v60, v60
	v_fma_f32 v66, 0x3fb8aa3b, v76, -v80
	v_rndne_f32_e32 v83, v80
	v_mul_u32_u24_sdwa v94, v60, v45 dst_sel:DWORD dst_unused:UNUSED_PAD src0_sel:WORD_0 src1_sel:DWORD
	v_cvt_i32_f32_e32 v60, v93
	v_fmac_f32_e32 v66, 0x32a5705f, v76
	v_sub_f32_e32 v80, v80, v83
	v_pk_mul_f16 v93, v58, v94
	v_pk_mul_f16 v109, v57, v94
	v_ldexp_f32 v57, v59, v60
	v_add_f32_e32 v58, v80, v66
	v_fma_f32 v59, 0x3fb8aa3b, v75, -v86
	v_rndne_f32_e32 v60, v86
	v_cvt_i32_f32_e32 v80, v83
	v_cndmask_b32_e32 v57, 0, v57, vcc_lo
	v_exp_f32_e32 v58, v58
	v_fmac_f32_e32 v59, 0x32a5705f, v75
	v_sub_f32_e32 v66, v86, v60
	v_cmp_nlt_f32_e32 vcc_lo, 0x42b17218, v81
	v_cvt_i32_f32_e32 v60, v60
	v_mul_f32_e32 v86, 0x3fb8aa3b, v65
	v_pk_mul_f16 v55, v55, v94
	v_add_f32_e32 v59, v66, v59
	v_mul_f32_e32 v66, 0x3fb8aa3b, v74
	v_cndmask_b32_e32 v57, 0x7f800000, v57, vcc_lo
	v_ldexp_f32 v58, v58, v80
	v_cmp_ngt_f32_e32 vcc_lo, 0xc2ce8ed0, v76
	v_exp_f32_e32 v59, v59
	v_fma_f32 v80, 0x3fb8aa3b, v74, -v66
	v_rndne_f32_e32 v83, v66
	v_cvt_f16_f32_e32 v81, v57
	v_cndmask_b32_e32 v58, 0, v58, vcc_lo
	v_cmp_nlt_f32_e32 vcc_lo, 0x42b17218, v76
	v_fmac_f32_e32 v80, 0x32a5705f, v74
	v_sub_f32_e32 v66, v66, v83
	v_rndne_f32_e32 v76, v86
	v_cndmask_b32_e32 v58, 0x7f800000, v58, vcc_lo
	v_ldexp_f32 v59, v59, v60
	v_add_f32_e32 v60, v66, v80
	v_fma_f32 v66, 0x3fb8aa3b, v65, -v86
	v_cmp_ngt_f32_e32 vcc_lo, 0xc2ce8ed0, v75
	v_sub_f32_e32 v80, v86, v76
	v_add_f32_e32 v57, v57, v58
	v_exp_f32_e32 v60, v60
	v_fmac_f32_e32 v66, 0x32a5705f, v65
	v_cndmask_b32_e32 v59, 0, v59, vcc_lo
	v_cmp_nlt_f32_e32 vcc_lo, 0x42b17218, v75
	v_cvt_i32_f32_e32 v75, v83
	v_cvt_f16_f32_e32 v83, v58
	v_add_f32_e32 v66, v80, v66
	v_sub_f32_e32 v80, v85, v4
	v_cndmask_b32_e32 v59, 0x7f800000, v59, vcc_lo
	v_cmp_ngt_f32_e32 vcc_lo, 0xc2ce8ed0, v74
	v_exp_f32_e32 v58, v66
	v_add_f32_e32 v85, v59, v57
	v_ldexp_f32 v57, v60, v75
	v_mul_f32_e32 v60, 0x3fb8aa3b, v80
	v_cvt_f16_f32_e32 v66, v59
	v_cvt_i32_f32_e32 v59, v76
	v_cndmask_b32_e32 v57, 0, v57, vcc_lo
	v_fma_f32 v75, 0x3fb8aa3b, v80, -v60
	v_rndne_f32_e32 v76, v60
	v_cmp_nlt_f32_e32 vcc_lo, 0x42b17218, v74
	v_fmac_f32_e32 v75, 0x32a5705f, v80
	v_cndmask_b32_e32 v74, 0x7f800000, v57, vcc_lo
	v_ldexp_f32 v57, v58, v59
	v_sub_f32_e32 v58, v60, v76
	v_cmp_ngt_f32_e32 vcc_lo, 0xc2ce8ed0, v65
	v_mul_f32_e32 v59, 0x3fb8aa3b, v84
	v_cvt_i32_f32_e32 v76, v76
	v_cvt_f16_f32_e32 v86, v74
	v_add_f32_e32 v58, v58, v75
	v_cndmask_b32_e32 v57, 0, v57, vcc_lo
	v_cmp_nlt_f32_e32 vcc_lo, 0x42b17218, v65
	v_fma_f32 v60, 0x3fb8aa3b, v84, -v59
	v_rndne_f32_e32 v75, v59
	v_sub_f32_e32 v65, v78, v4
	v_sub_f32_e32 v78, v64, v4
	v_cndmask_b32_e32 v110, 0x7f800000, v57, vcc_lo
	v_exp_f32_e32 v57, v58
	v_fmac_f32_e32 v60, 0x32a5705f, v84
	v_sub_f32_e32 v58, v59, v75
	v_mul_f32_e32 v59, 0x3fb8aa3b, v79
	v_mul_f32_e32 v64, 0x3fb8aa3b, v65
	v_cmp_ngt_f32_e32 vcc_lo, 0xc2ce8ed0, v80
	v_cvt_i32_f32_e32 v75, v75
	v_add_f32_e32 v58, v58, v60
	v_fma_f32 v60, 0x3fb8aa3b, v79, -v59
	v_fma_f32 v112, 0x3fb8aa3b, v65, -v64
	v_ldexp_f32 v57, v57, v76
	v_rndne_f32_e32 v76, v59
	v_exp_f32_e32 v58, v58
	v_fmac_f32_e32 v60, 0x32a5705f, v79
	v_rndne_f32_e32 v113, v64
	v_cndmask_b32_e32 v57, 0, v57, vcc_lo
	v_sub_f32_e32 v59, v59, v76
	v_fmac_f32_e32 v112, 0x32a5705f, v65
	v_cmp_nlt_f32_e32 vcc_lo, 0x42b17218, v80
	v_sub_f32_e32 v64, v64, v113
	v_add_f32_e32 v59, v59, v60
	v_ldexp_f32 v58, v58, v75
	v_cndmask_b32_e32 v80, 0x7f800000, v57, vcc_lo
	v_add_f32_e32 v57, v64, v112
	v_cmp_ngt_f32_e32 vcc_lo, 0xc2ce8ed0, v84
	v_exp_f32_e32 v59, v59
	v_cvt_i32_f32_e32 v64, v76
	v_mul_f32_e32 v60, 0x3fb8aa3b, v78
	v_exp_f32_e32 v57, v57
	v_cndmask_b32_e32 v58, 0, v58, vcc_lo
	v_cmp_nlt_f32_e32 vcc_lo, 0x42b17218, v84
	v_cvt_i32_f32_e32 v112, v113
	v_fma_f32 v75, 0x3fb8aa3b, v78, -v60
	v_rndne_f32_e32 v76, v60
	v_add_nc_u32_e32 v113, v39, v29
	v_ldexp_f32 v59, v59, v64
	v_cndmask_b32_e32 v84, 0x7f800000, v58, vcc_lo
	v_cmp_ngt_f32_e32 vcc_lo, 0xc2ce8ed0, v79
	v_ldexp_f32 v57, v57, v112
	v_fmac_f32_e32 v75, 0x32a5705f, v78
	v_sub_f32_e32 v60, v60, v76
	v_cndmask_b32_e32 v59, 0, v59, vcc_lo
	v_cmp_ngt_f32_e32 vcc_lo, 0xc2ce8ed0, v65
	v_add_f32_e32 v58, v60, v75
	v_cvt_f16_f32_e32 v60, v84
	v_cndmask_b32_e32 v57, 0, v57, vcc_lo
	v_cmp_nlt_f32_e32 vcc_lo, 0x42b17218, v79
	v_exp_f32_e32 v58, v58
	v_pack_b32_f16 v60, v83, v60
	v_cndmask_b32_e32 v75, 0x7f800000, v59, vcc_lo
	v_cmp_nlt_f32_e32 vcc_lo, 0x42b17218, v65
	v_cvt_f16_f32_e32 v59, v80
	v_cvt_f16_f32_e32 v64, v75
	v_cndmask_b32_e32 v79, 0x7f800000, v57, vcc_lo
	v_cvt_i32_f32_e32 v57, v76
	v_cmp_ngt_f32_e32 vcc_lo, 0xc2ce8ed0, v78
	v_pack_b32_f16 v65, v66, v64
	v_cvt_f16_f32_e32 v76, v79
	v_ldexp_f32 v112, v58, v57
	v_pack_b32_f16 v58, v81, v59
	v_pack_b32_f16 v57, v88, v111
	;; [unrolled: 1-line block ×6, first 2 shown]
	ds_write2_b64 v113, v[57:58], v[59:60] offset1:32
	ds_write2_b64 v113, v[64:65], v[66:67] offset0:64 offset1:96
	s_waitcnt vmcnt(3)
	ds_write_b128 v40, v[89:92]
	s_waitcnt vmcnt(2)
	ds_write_b128 v41, v[95:98]
	;; [unrolled: 2-line block ×4, first 2 shown]
	s_waitcnt lgkmcnt(0)
	s_barrier
	buffer_gl0_inv
	v_add_nc_u32_e32 v57, 0x5000, v29
	ds_read_b128 v[58:61], v39
	v_add_f32_e32 v72, v80, v84
	v_cndmask_b32_e32 v73, 0, v112, vcc_lo
	v_cmp_nlt_f32_e32 vcc_lo, 0x42b17218, v78
	ds_read2_b64 v[64:67], v57 offset1:32
	v_cvt_f16_f32_e32 v77, v110
	v_add_f32_e32 v72, v75, v72
	v_cndmask_b32_e32 v76, 0x7f800000, v73, vcc_lo
	v_add_f32_e32 v73, v74, v85
	v_mul_u32_u24_sdwa v88, v77, v45 dst_sel:DWORD dst_unused:UNUSED_PAD src0_sel:WORD_0 src1_sel:DWORD
	v_add_f32_e32 v72, v79, v72
	v_add_co_u32 v159, vcc_lo, s18, v16
	v_cvt_f16_f32_e32 v74, v76
	v_fmac_f32_e32 v73, v63, v110
	v_fmac_f32_e32 v72, v62, v76
	v_pk_mul_f16 v53, v53, v88
	v_pk_mul_f16 v51, v51, v88
	v_mul_u32_u24_sdwa v63, v74, v45 dst_sel:DWORD dst_unused:UNUSED_PAD src0_sel:WORD_0 src1_sel:DWORD
	ds_read_b128 v[74:77], v39 offset:16
	s_waitcnt lgkmcnt(2)
	v_mul_u32_u24_sdwa v90, v58, v45 dst_sel:DWORD dst_unused:UNUSED_PAD src0_sel:WORD_0 src1_sel:DWORD
	v_mul_u32_u24_sdwa v58, v58, v45 dst_sel:DWORD dst_unused:UNUSED_PAD src0_sel:WORD_1 src1_sel:DWORD
	v_mul_u32_u24_sdwa v92, v59, v45 dst_sel:DWORD dst_unused:UNUSED_PAD src0_sel:WORD_0 src1_sel:DWORD
	v_pk_mul_f16 v62, v48, v63
	v_pk_mul_f16 v89, v49, v63
	s_waitcnt lgkmcnt(1)
	v_pk_mul_f16 v83, v64, v90
	v_pk_mul_f16 v91, v47, v63
	;; [unrolled: 1-line block ×3, first 2 shown]
	ds_read_b128 v[46:49], v39 offset:32
	ds_read_b128 v[78:81], v39 offset:48
	v_pk_mul_f16 v52, v52, v88
	v_pk_fma_f16 v56, v56, v87, v83
	ds_read2_b64 v[83:86], v57 offset0:64 offset1:96
	v_pk_mul_f16 v95, v64, v58
	v_pk_mul_f16 v96, v64, v92
	v_mul_u32_u24_sdwa v59, v59, v45 dst_sel:DWORD dst_unused:UNUSED_PAD src0_sel:WORD_1 src1_sel:DWORD
	v_pk_fma_f16 v68, v66, v90, v68
	v_pk_fma_f16 v69, v67, v90, v69
	v_pk_fma_f16 v54, v54, v94, v95
	v_pk_fma_f16 v87, v50, v88, v96
	v_pk_fma_f16 v62, v64, v59, v62
	v_pk_fma_f16 v64, v65, v90, v108
	v_pk_fma_f16 v88, v65, v58, v93
	v_pk_fma_f16 v93, v65, v92, v53
	v_pk_fma_f16 v65, v65, v59, v89
	v_pk_fma_f16 v89, v66, v58, v109
	v_pk_fma_f16 v94, v66, v92, v51
	v_pk_fma_f16 v66, v66, v59, v91
	v_pk_fma_f16 v55, v67, v58, v55
	v_pk_fma_f16 v58, v67, v92, v52
	v_mul_u32_u24_sdwa v90, v60, v45 dst_sel:DWORD dst_unused:UNUSED_PAD src0_sel:WORD_0 src1_sel:DWORD
	v_pk_fma_f16 v59, v67, v59, v63
	v_mul_u32_u24_sdwa v60, v60, v45 dst_sel:DWORD dst_unused:UNUSED_PAD src0_sel:WORD_1 src1_sel:DWORD
	v_mul_u32_u24_sdwa v63, v61, v45 dst_sel:DWORD dst_unused:UNUSED_PAD src0_sel:WORD_0 src1_sel:DWORD
	v_mul_u32_u24_sdwa v61, v61, v45 dst_sel:DWORD dst_unused:UNUSED_PAD src0_sel:WORD_1 src1_sel:DWORD
	ds_read2_b64 v[50:53], v57 offset0:128 offset1:160
	s_waitcnt lgkmcnt(1)
	v_pk_fma_f16 v56, v83, v90, v56
	v_pk_fma_f16 v54, v83, v60, v54
	;; [unrolled: 1-line block ×15, first 2 shown]
	ds_read2_b64 v[58:61], v57 offset0:192 offset1:224
	v_pk_fma_f16 v68, v85, v90, v68
	v_mul_u32_u24_sdwa v85, v74, v45 dst_sel:DWORD dst_unused:UNUSED_PAD src0_sel:WORD_0 src1_sel:DWORD
	v_mul_u32_u24_sdwa v74, v74, v45 dst_sel:DWORD dst_unused:UNUSED_PAD src0_sel:WORD_1 src1_sel:DWORD
	v_mul_u32_u24_sdwa v89, v75, v45 dst_sel:DWORD dst_unused:UNUSED_PAD src0_sel:WORD_0 src1_sel:DWORD
	v_mul_u32_u24_sdwa v75, v75, v45 dst_sel:DWORD dst_unused:UNUSED_PAD src0_sel:WORD_1 src1_sel:DWORD
	v_add_co_ci_u32_e64 v160, null, s19, v17, vcc_lo
	s_waitcnt lgkmcnt(1)
	v_pk_fma_f16 v56, v50, v85, v56
	v_pk_fma_f16 v90, v50, v74, v54
	;; [unrolled: 1-line block ×13, first 2 shown]
	v_mul_u32_u24_sdwa v85, v76, v45 dst_sel:DWORD dst_unused:UNUSED_PAD src0_sel:WORD_0 src1_sel:DWORD
	v_add_nc_u32_e32 v52, 0x5800, v29
	v_pk_fma_f16 v74, v53, v74, v55
	v_pk_fma_f16 v63, v53, v89, v63
	;; [unrolled: 1-line block ×3, first 2 shown]
	s_waitcnt lgkmcnt(0)
	v_pk_fma_f16 v87, v58, v85, v56
	ds_read2_b64 v[53:56], v52 offset1:32
	v_mul_u32_u24_sdwa v76, v76, v45 dst_sel:DWORD dst_unused:UNUSED_PAD src0_sel:WORD_1 src1_sel:DWORD
	v_mul_u32_u24_sdwa v86, v77, v45 dst_sel:DWORD dst_unused:UNUSED_PAD src0_sel:WORD_0 src1_sel:DWORD
	v_mul_u32_u24_sdwa v77, v77, v45 dst_sel:DWORD dst_unused:UNUSED_PAD src0_sel:WORD_1 src1_sel:DWORD
	v_pk_fma_f16 v62, v59, v85, v62
	v_pk_fma_f16 v65, v60, v85, v65
	;; [unrolled: 1-line block ×14, first 2 shown]
	v_mul_u32_u24_sdwa v76, v46, v45 dst_sel:DWORD dst_unused:UNUSED_PAD src0_sel:WORD_0 src1_sel:DWORD
	v_pk_fma_f16 v75, v61, v77, v75
	v_mul_u32_u24_sdwa v46, v46, v45 dst_sel:DWORD dst_unused:UNUSED_PAD src0_sel:WORD_1 src1_sel:DWORD
	v_mul_u32_u24_sdwa v77, v47, v45 dst_sel:DWORD dst_unused:UNUSED_PAD src0_sel:WORD_0 src1_sel:DWORD
	v_mul_u32_u24_sdwa v47, v47, v45 dst_sel:DWORD dst_unused:UNUSED_PAD src0_sel:WORD_1 src1_sel:DWORD
	ds_read2_b64 v[58:61], v52 offset0:64 offset1:96
	s_waitcnt lgkmcnt(1)
	v_pk_fma_f16 v85, v53, v76, v87
	v_pk_fma_f16 v86, v53, v46, v88
	;; [unrolled: 1-line block ×15, first 2 shown]
	v_mul_u32_u24_sdwa v74, v48, v45 dst_sel:DWORD dst_unused:UNUSED_PAD src0_sel:WORD_0 src1_sel:DWORD
	v_pk_fma_f16 v56, v56, v47, v75
	v_mul_u32_u24_sdwa v75, v48, v45 dst_sel:DWORD dst_unused:UNUSED_PAD src0_sel:WORD_1 src1_sel:DWORD
	v_mul_u32_u24_sdwa v76, v49, v45 dst_sel:DWORD dst_unused:UNUSED_PAD src0_sel:WORD_0 src1_sel:DWORD
	v_mul_u32_u24_sdwa v77, v49, v45 dst_sel:DWORD dst_unused:UNUSED_PAD src0_sel:WORD_1 src1_sel:DWORD
	ds_read2_b64 v[46:49], v52 offset0:128 offset1:160
	s_waitcnt lgkmcnt(1)
	v_pk_fma_f16 v83, v58, v74, v85
	v_pk_fma_f16 v84, v58, v75, v86
	;; [unrolled: 1-line block ×15, first 2 shown]
	v_mul_u32_u24_sdwa v74, v78, v45 dst_sel:DWORD dst_unused:UNUSED_PAD src0_sel:WORD_0 src1_sel:DWORD
	v_mul_u32_u24_sdwa v75, v78, v45 dst_sel:DWORD dst_unused:UNUSED_PAD src0_sel:WORD_1 src1_sel:DWORD
	v_mul_u32_u24_sdwa v76, v79, v45 dst_sel:DWORD dst_unused:UNUSED_PAD src0_sel:WORD_0 src1_sel:DWORD
	v_pk_fma_f16 v61, v61, v77, v56
	v_mul_u32_u24_sdwa v77, v79, v45 dst_sel:DWORD dst_unused:UNUSED_PAD src0_sel:WORD_1 src1_sel:DWORD
	ds_read2_b64 v[53:56], v52 offset0:192 offset1:224
	s_waitcnt lgkmcnt(1)
	v_pk_fma_f16 v78, v46, v74, v83
	v_pk_fma_f16 v79, v46, v75, v84
	;; [unrolled: 1-line block ×16, first 2 shown]
	v_add_nc_u32_e32 v49, 0x6000, v29
	ds_read_b128 v[58:61], v39 offset:64
	v_mul_u32_u24_sdwa v76, v80, v45 dst_sel:DWORD dst_unused:UNUSED_PAD src0_sel:WORD_0 src1_sel:DWORD
	v_mul_u32_u24_sdwa v77, v80, v45 dst_sel:DWORD dst_unused:UNUSED_PAD src0_sel:WORD_1 src1_sel:DWORD
	v_mul_u32_u24_sdwa v80, v81, v45 dst_sel:DWORD dst_unused:UNUSED_PAD src0_sel:WORD_0 src1_sel:DWORD
	ds_read2_b64 v[62:65], v49 offset1:32
	v_mul_u32_u24_sdwa v81, v81, v45 dst_sel:DWORD dst_unused:UNUSED_PAD src0_sel:WORD_1 src1_sel:DWORD
	s_waitcnt lgkmcnt(2)
	v_pk_fma_f16 v78, v53, v76, v78
	v_pk_fma_f16 v79, v53, v77, v79
	;; [unrolled: 1-line block ×16, first 2 shown]
	ds_read2_b64 v[53:56], v49 offset0:64 offset1:96
	ds_read_b128 v[66:69], v39 offset:80
	s_waitcnt lgkmcnt(3)
	v_mul_u32_u24_sdwa v80, v58, v45 dst_sel:DWORD dst_unused:UNUSED_PAD src0_sel:WORD_0 src1_sel:DWORD
	v_mul_u32_u24_sdwa v58, v58, v45 dst_sel:DWORD dst_unused:UNUSED_PAD src0_sel:WORD_1 src1_sel:DWORD
	v_mul_u32_u24_sdwa v81, v59, v45 dst_sel:DWORD dst_unused:UNUSED_PAD src0_sel:WORD_0 src1_sel:DWORD
	v_mul_u32_u24_sdwa v59, v59, v45 dst_sel:DWORD dst_unused:UNUSED_PAD src0_sel:WORD_1 src1_sel:DWORD
	v_add_co_u32 v161, vcc_lo, s18, v18
	s_waitcnt lgkmcnt(2)
	v_pk_fma_f16 v78, v62, v80, v78
	v_pk_fma_f16 v79, v62, v58, v79
	;; [unrolled: 1-line block ×15, first 2 shown]
	v_mul_u32_u24_sdwa v77, v60, v45 dst_sel:DWORD dst_unused:UNUSED_PAD src0_sel:WORD_0 src1_sel:DWORD
	v_pk_fma_f16 v65, v65, v59, v75
	v_mul_u32_u24_sdwa v75, v60, v45 dst_sel:DWORD dst_unused:UNUSED_PAD src0_sel:WORD_1 src1_sel:DWORD
	v_mul_u32_u24_sdwa v80, v61, v45 dst_sel:DWORD dst_unused:UNUSED_PAD src0_sel:WORD_0 src1_sel:DWORD
	v_mul_u32_u24_sdwa v81, v61, v45 dst_sel:DWORD dst_unused:UNUSED_PAD src0_sel:WORD_1 src1_sel:DWORD
	ds_read2_b64 v[58:61], v49 offset0:128 offset1:160
	s_waitcnt lgkmcnt(2)
	v_pk_fma_f16 v78, v53, v77, v78
	v_pk_fma_f16 v79, v53, v75, v79
	;; [unrolled: 1-line block ×16, first 2 shown]
	ds_read2_b64 v[53:56], v49 offset0:192 offset1:224
	s_waitcnt lgkmcnt(2)
	v_mul_u32_u24_sdwa v76, v66, v45 dst_sel:DWORD dst_unused:UNUSED_PAD src0_sel:WORD_0 src1_sel:DWORD
	v_mul_u32_u24_sdwa v66, v66, v45 dst_sel:DWORD dst_unused:UNUSED_PAD src0_sel:WORD_1 src1_sel:DWORD
	v_mul_u32_u24_sdwa v77, v67, v45 dst_sel:DWORD dst_unused:UNUSED_PAD src0_sel:WORD_0 src1_sel:DWORD
	v_mul_u32_u24_sdwa v67, v67, v45 dst_sel:DWORD dst_unused:UNUSED_PAD src0_sel:WORD_1 src1_sel:DWORD
	v_mul_u32_u24_sdwa v87, v69, v45 dst_sel:DWORD dst_unused:UNUSED_PAD src0_sel:WORD_1 src1_sel:DWORD
	s_waitcnt lgkmcnt(1)
	v_pk_fma_f16 v78, v58, v76, v78
	v_pk_fma_f16 v79, v58, v66, v79
	;; [unrolled: 1-line block ×16, first 2 shown]
	v_add_nc_u32_e32 v50, 0x6800, v29
	ds_read_b128 v[58:61], v39 offset:96
	v_mul_u32_u24_sdwa v67, v68, v45 dst_sel:DWORD dst_unused:UNUSED_PAD src0_sel:WORD_0 src1_sel:DWORD
	v_mul_u32_u24_sdwa v68, v68, v45 dst_sel:DWORD dst_unused:UNUSED_PAD src0_sel:WORD_1 src1_sel:DWORD
	v_mul_u32_u24_sdwa v77, v69, v45 dst_sel:DWORD dst_unused:UNUSED_PAD src0_sel:WORD_0 src1_sel:DWORD
	ds_read2_b64 v[62:65], v50 offset1:32
	s_waitcnt lgkmcnt(2)
	v_pk_fma_f16 v46, v53, v87, v46
	v_pk_fma_f16 v78, v53, v67, v78
	;; [unrolled: 1-line block ×16, first 2 shown]
	ds_read2_b64 v[53:56], v50 offset0:64 offset1:96
	ds_read_b128 v[66:69], v39 offset:112
	s_waitcnt lgkmcnt(3)
	v_mul_u32_u24_sdwa v77, v58, v45 dst_sel:DWORD dst_unused:UNUSED_PAD src0_sel:WORD_0 src1_sel:DWORD
	v_mul_u32_u24_sdwa v58, v58, v45 dst_sel:DWORD dst_unused:UNUSED_PAD src0_sel:WORD_1 src1_sel:DWORD
	v_mul_u32_u24_sdwa v87, v59, v45 dst_sel:DWORD dst_unused:UNUSED_PAD src0_sel:WORD_0 src1_sel:DWORD
	v_mul_u32_u24_sdwa v59, v59, v45 dst_sel:DWORD dst_unused:UNUSED_PAD src0_sel:WORD_1 src1_sel:DWORD
	v_add_co_ci_u32_e64 v162, null, s19, v19, vcc_lo
	s_waitcnt lgkmcnt(2)
	v_pk_fma_f16 v78, v62, v77, v78
	v_pk_fma_f16 v79, v62, v58, v79
	;; [unrolled: 1-line block ×15, first 2 shown]
	v_mul_u32_u24_sdwa v77, v60, v45 dst_sel:DWORD dst_unused:UNUSED_PAD src0_sel:WORD_0 src1_sel:DWORD
	v_pk_fma_f16 v65, v65, v59, v75
	v_mul_u32_u24_sdwa v75, v60, v45 dst_sel:DWORD dst_unused:UNUSED_PAD src0_sel:WORD_1 src1_sel:DWORD
	v_mul_u32_u24_sdwa v85, v61, v45 dst_sel:DWORD dst_unused:UNUSED_PAD src0_sel:WORD_0 src1_sel:DWORD
	v_mul_u32_u24_sdwa v86, v61, v45 dst_sel:DWORD dst_unused:UNUSED_PAD src0_sel:WORD_1 src1_sel:DWORD
	ds_read2_b64 v[58:61], v50 offset0:128 offset1:160
	s_waitcnt lgkmcnt(2)
	v_pk_fma_f16 v78, v53, v77, v78
	v_pk_fma_f16 v79, v53, v75, v79
	;; [unrolled: 1-line block ×16, first 2 shown]
	ds_read2_b64 v[53:56], v50 offset0:192 offset1:224
	v_add_co_u32 v159, vcc_lo, v159, v37
	v_add_co_ci_u32_e64 v160, null, 0, v160, vcc_lo
	v_add_co_u32 v163, vcc_lo, v161, v37
	v_add_co_ci_u32_e64 v164, null, 0, v162, vcc_lo
	v_add_co_u32 v161, vcc_lo, s18, v20
	s_waitcnt lgkmcnt(2)
	v_mul_u32_u24_sdwa v76, v66, v45 dst_sel:DWORD dst_unused:UNUSED_PAD src0_sel:WORD_0 src1_sel:DWORD
	v_mul_u32_u24_sdwa v66, v66, v45 dst_sel:DWORD dst_unused:UNUSED_PAD src0_sel:WORD_1 src1_sel:DWORD
	v_mul_u32_u24_sdwa v77, v67, v45 dst_sel:DWORD dst_unused:UNUSED_PAD src0_sel:WORD_0 src1_sel:DWORD
	v_mul_u32_u24_sdwa v67, v67, v45 dst_sel:DWORD dst_unused:UNUSED_PAD src0_sel:WORD_1 src1_sel:DWORD
	v_add_co_ci_u32_e64 v162, null, s19, v21, vcc_lo
	v_add_co_u32 v165, vcc_lo, s18, v22
	v_add_co_ci_u32_e64 v166, null, s19, v23, vcc_lo
	v_add_co_u32 v167, vcc_lo, v161, v37
	s_waitcnt lgkmcnt(1)
	v_pk_fma_f16 v78, v58, v76, v78
	v_pk_fma_f16 v79, v58, v66, v79
	;; [unrolled: 1-line block ×7, first 2 shown]
	v_mul_u32_u24_sdwa v188, v68, v45 dst_sel:DWORD dst_unused:UNUSED_PAD src0_sel:WORD_0 src1_sel:DWORD
	v_mul_u32_u24_sdwa v189, v68, v45 dst_sel:DWORD dst_unused:UNUSED_PAD src0_sel:WORD_1 src1_sel:DWORD
	v_mul_u32_u24_sdwa v190, v69, v45 dst_sel:DWORD dst_unused:UNUSED_PAD src0_sel:WORD_0 src1_sel:DWORD
	v_add_nc_u32_e32 v51, 0x7000, v29
	v_add_nc_u32_e32 v48, 0x7800, v29
	;; [unrolled: 1-line block ×4, first 2 shown]
	v_add_co_ci_u32_e64 v168, null, 0, v162, vcc_lo
	v_add_co_u32 v171, vcc_lo, v165, v37
	v_add_co_ci_u32_e64 v172, null, 0, v166, vcc_lo
	v_pk_fma_f16 v176, v59, v76, v62
	v_pk_fma_f16 v177, v59, v66, v81
	v_pk_fma_f16 v178, v59, v77, v83
	v_pk_fma_f16 v181, v60, v66, v63
	v_pk_fma_f16 v182, v60, v77, v84
	v_pk_fma_f16 v184, v61, v76, v64
	v_pk_fma_f16 v185, v61, v66, v75
	v_pk_fma_f16 v186, v61, v77, v74
	v_pk_fma_f16 v187, v61, v67, v65
	v_mul_u32_u24_sdwa v191, v69, v45 dst_sel:DWORD dst_unused:UNUSED_PAD src0_sel:WORD_1 src1_sel:DWORD
	s_waitcnt lgkmcnt(0)
	v_pk_fma_f16 v192, v53, v188, v78
	v_pk_fma_f16 v193, v53, v189, v79
	;; [unrolled: 1-line block ×3, first 2 shown]
	ds_read2_b64 v[58:61], v51 offset1:32
	ds_read2_b64 v[62:65], v51 offset0:64 offset1:96
	ds_read2_b64 v[66:69], v51 offset0:128 offset1:160
	ds_read_b128 v[74:77], v39 offset:128
	ds_read_b128 v[78:81], v39 offset:144
	ds_read2_b64 v[83:86], v51 offset0:192 offset1:224
	ds_read2_b64 v[87:90], v48 offset1:32
	ds_read2_b64 v[91:94], v48 offset0:64 offset1:96
	ds_read2_b64 v[95:98], v48 offset0:128 offset1:160
	ds_read_b128 v[99:102], v39 offset:160
	ds_read_b128 v[103:106], v39 offset:176
	ds_read2_b64 v[107:110], v48 offset0:192 offset1:224
	;; [unrolled: 6-line block ×4, first 2 shown]
	s_waitcnt lgkmcnt(0)
	s_barrier
	buffer_gl0_inv
	s_clause 0x3
	global_load_dwordx4 v[159:162], v[159:160], off
	global_load_dwordx4 v[163:166], v[163:164], off
	;; [unrolled: 1-line block ×4, first 2 shown]
	v_pk_fma_f16 v53, v53, v191, v175
	v_pk_fma_f16 v175, v54, v188, v176
	v_pk_fma_f16 v176, v54, v189, v177
	v_pk_fma_f16 v177, v54, v190, v178
	v_pk_fma_f16 v54, v54, v191, v179
	v_pk_fma_f16 v178, v55, v188, v180
	v_pk_fma_f16 v179, v55, v189, v181
	v_pk_fma_f16 v180, v55, v190, v182
	v_pk_fma_f16 v55, v55, v191, v183
	v_pk_fma_f16 v181, v56, v188, v184
	v_pk_fma_f16 v182, v56, v189, v185
	v_pk_fma_f16 v183, v56, v190, v186
	v_mul_u32_u24_sdwa v184, v74, v45 dst_sel:DWORD dst_unused:UNUSED_PAD src0_sel:WORD_0 src1_sel:DWORD
	v_mul_u32_u24_sdwa v74, v74, v45 dst_sel:DWORD dst_unused:UNUSED_PAD src0_sel:WORD_1 src1_sel:DWORD
	v_mul_u32_u24_sdwa v185, v75, v45 dst_sel:DWORD dst_unused:UNUSED_PAD src0_sel:WORD_0 src1_sel:DWORD
	v_mul_u32_u24_sdwa v75, v75, v45 dst_sel:DWORD dst_unused:UNUSED_PAD src0_sel:WORD_1 src1_sel:DWORD
	v_pk_fma_f16 v56, v56, v191, v187
	v_pk_fma_f16 v186, v58, v184, v192
	v_pk_fma_f16 v187, v58, v74, v193
	v_pk_fma_f16 v188, v58, v185, v194
	v_pk_fma_f16 v53, v58, v75, v53
	v_pk_fma_f16 v58, v59, v184, v175
	v_pk_fma_f16 v175, v59, v74, v176
	v_pk_fma_f16 v176, v59, v185, v177
	v_pk_fma_f16 v54, v59, v75, v54
	v_pk_fma_f16 v59, v60, v184, v178
	v_pk_fma_f16 v177, v60, v74, v179
	v_pk_fma_f16 v178, v60, v185, v180
	v_pk_fma_f16 v55, v60, v75, v55
	v_pk_fma_f16 v60, v61, v184, v181
	v_pk_fma_f16 v74, v61, v74, v182
	v_pk_fma_f16 v179, v61, v185, v183
	v_mul_u32_u24_sdwa v180, v76, v45 dst_sel:DWORD dst_unused:UNUSED_PAD src0_sel:WORD_0 src1_sel:DWORD
	v_mul_u32_u24_sdwa v76, v76, v45 dst_sel:DWORD dst_unused:UNUSED_PAD src0_sel:WORD_1 src1_sel:DWORD
	v_mul_u32_u24_sdwa v181, v77, v45 dst_sel:DWORD dst_unused:UNUSED_PAD src0_sel:WORD_0 src1_sel:DWORD
	v_mul_u32_u24_sdwa v77, v77, v45 dst_sel:DWORD dst_unused:UNUSED_PAD src0_sel:WORD_1 src1_sel:DWORD
	v_pk_fma_f16 v56, v61, v75, v56
	v_pk_fma_f16 v61, v62, v180, v186
	v_pk_fma_f16 v75, v62, v76, v187
	v_pk_fma_f16 v182, v62, v181, v188
	;; [unrolled: 20-line block ×4, first 2 shown]
	v_pk_fma_f16 v53, v83, v78, v53
	v_pk_fma_f16 v58, v84, v74, v58
	;; [unrolled: 1-line block ×12, first 2 shown]
	v_mul_u32_u24_sdwa v74, v99, v45 dst_sel:DWORD dst_unused:UNUSED_PAD src0_sel:WORD_0 src1_sel:DWORD
	v_mul_u32_u24_sdwa v75, v99, v45 dst_sel:DWORD dst_unused:UNUSED_PAD src0_sel:WORD_1 src1_sel:DWORD
	v_mul_u32_u24_sdwa v77, v100, v45 dst_sel:DWORD dst_unused:UNUSED_PAD src0_sel:WORD_1 src1_sel:DWORD
	v_pk_fma_f16 v56, v86, v78, v56
	v_mul_u32_u24_sdwa v78, v102, v45 dst_sel:DWORD dst_unused:UNUSED_PAD src0_sel:WORD_1 src1_sel:DWORD
	v_pk_fma_f16 v61, v87, v74, v61
	v_pk_fma_f16 v65, v87, v75, v65
	;; [unrolled: 1-line block ×11, first 2 shown]
	v_mul_u32_u24_sdwa v74, v101, v45 dst_sel:DWORD dst_unused:UNUSED_PAD src0_sel:WORD_0 src1_sel:DWORD
	v_mul_u32_u24_sdwa v75, v101, v45 dst_sel:DWORD dst_unused:UNUSED_PAD src0_sel:WORD_1 src1_sel:DWORD
	v_pk_fma_f16 v56, v90, v77, v56
	v_pk_fma_f16 v53, v91, v78, v53
	;; [unrolled: 1-line block ×12, first 2 shown]
	v_mul_u32_u24_sdwa v74, v103, v45 dst_sel:DWORD dst_unused:UNUSED_PAD src0_sel:WORD_0 src1_sel:DWORD
	v_mul_u32_u24_sdwa v75, v103, v45 dst_sel:DWORD dst_unused:UNUSED_PAD src0_sel:WORD_1 src1_sel:DWORD
	v_mul_u32_u24_sdwa v77, v104, v45 dst_sel:DWORD dst_unused:UNUSED_PAD src0_sel:WORD_1 src1_sel:DWORD
	v_mul_u32_u24_sdwa v76, v100, v45 dst_sel:DWORD dst_unused:UNUSED_PAD src0_sel:WORD_0 src1_sel:DWORD
	v_pk_fma_f16 v56, v94, v78, v56
	v_pk_fma_f16 v61, v95, v74, v61
	v_pk_fma_f16 v65, v95, v75, v65
	v_pk_fma_f16 v53, v95, v77, v53
	v_pk_fma_f16 v58, v96, v74, v58
	v_pk_fma_f16 v62, v96, v75, v62
	v_pk_fma_f16 v54, v96, v77, v54
	v_pk_fma_f16 v59, v97, v74, v59
	v_pk_fma_f16 v63, v97, v75, v63
	v_pk_fma_f16 v55, v97, v77, v55
	v_pk_fma_f16 v60, v98, v74, v60
	v_pk_fma_f16 v64, v98, v75, v64
	v_mul_u32_u24_sdwa v74, v105, v45 dst_sel:DWORD dst_unused:UNUSED_PAD src0_sel:WORD_0 src1_sel:DWORD
	v_mul_u32_u24_sdwa v75, v105, v45 dst_sel:DWORD dst_unused:UNUSED_PAD src0_sel:WORD_1 src1_sel:DWORD
	v_mul_u32_u24_sdwa v78, v106, v45 dst_sel:DWORD dst_unused:UNUSED_PAD src0_sel:WORD_1 src1_sel:DWORD
	v_pk_fma_f16 v69, v87, v76, v69
	v_pk_fma_f16 v66, v88, v76, v66
	v_pk_fma_f16 v67, v89, v76, v67
	v_pk_fma_f16 v68, v90, v76, v68
	v_mul_u32_u24_sdwa v76, v102, v45 dst_sel:DWORD dst_unused:UNUSED_PAD src0_sel:WORD_0 src1_sel:DWORD
	v_pk_fma_f16 v56, v98, v77, v56
	v_pk_fma_f16 v61, v107, v74, v61
	v_pk_fma_f16 v65, v107, v75, v65
	v_pk_fma_f16 v53, v107, v78, v53
	v_pk_fma_f16 v58, v108, v74, v58
	v_pk_fma_f16 v62, v108, v75, v62
	v_pk_fma_f16 v54, v108, v78, v54
	v_pk_fma_f16 v59, v109, v74, v59
	v_pk_fma_f16 v63, v109, v75, v63
	v_pk_fma_f16 v55, v109, v78, v55
	v_pk_fma_f16 v60, v110, v74, v60
	v_pk_fma_f16 v64, v110, v75, v64
	v_mul_u32_u24_sdwa v74, v123, v45 dst_sel:DWORD dst_unused:UNUSED_PAD src0_sel:WORD_0 src1_sel:DWORD
	v_mul_u32_u24_sdwa v75, v123, v45 dst_sel:DWORD dst_unused:UNUSED_PAD src0_sel:WORD_1 src1_sel:DWORD
	v_mul_u32_u24_sdwa v77, v124, v45 dst_sel:DWORD dst_unused:UNUSED_PAD src0_sel:WORD_1 src1_sel:DWORD
	v_pk_fma_f16 v69, v91, v76, v69
	v_pk_fma_f16 v66, v92, v76, v66
	v_pk_fma_f16 v67, v93, v76, v67
	v_pk_fma_f16 v68, v94, v76, v68
	;; [unrolled: 20-line block ×8, first 2 shown]
	v_mul_u32_u24_sdwa v76, v148, v45 dst_sel:DWORD dst_unused:UNUSED_PAD src0_sel:WORD_0 src1_sel:DWORD
	v_pk_fma_f16 v78, v142, v78, v56
	v_pk_fma_f16 v61, v143, v74, v61
	;; [unrolled: 1-line block ×9, first 2 shown]
	v_mul_u32_u24_sdwa v75, v153, v45 dst_sel:DWORD dst_unused:UNUSED_PAD src0_sel:WORD_0 src1_sel:DWORD
	s_waitcnt vmcnt(3)
	ds_write_b128 v40, v[159:162]
	s_waitcnt vmcnt(2)
	ds_write_b128 v41, v[163:166]
	;; [unrolled: 2-line block ×4, first 2 shown]
	s_waitcnt lgkmcnt(0)
	s_barrier
	buffer_gl0_inv
	ds_read_b128 v[53:56], v39 offset:256
	v_pk_fma_f16 v69, v135, v76, v69
	v_pk_fma_f16 v66, v136, v76, v66
	v_pk_fma_f16 v67, v137, v76, v67
	v_pk_fma_f16 v68, v138, v76, v68
	v_mul_u32_u24_sdwa v76, v150, v45 dst_sel:DWORD dst_unused:UNUSED_PAD src0_sel:WORD_0 src1_sel:DWORD
	v_pk_fma_f16 v80, v144, v74, v58
	v_pk_fma_f16 v83, v145, v74, v59
	;; [unrolled: 1-line block ×5, first 2 shown]
	ds_read2_b64 v[58:61], v57 offset1:32
	v_pk_fma_f16 v69, v139, v76, v69
	v_pk_fma_f16 v66, v140, v76, v66
	;; [unrolled: 1-line block ×4, first 2 shown]
	v_mul_u32_u24_sdwa v76, v152, v45 dst_sel:DWORD dst_unused:UNUSED_PAD src0_sel:WORD_0 src1_sel:DWORD
	v_mul_u32_u24_sdwa v85, v154, v45 dst_sel:DWORD dst_unused:UNUSED_PAD src0_sel:WORD_0 src1_sel:DWORD
	v_mul_u32_u24_sdwa v86, v154, v45 dst_sel:DWORD dst_unused:UNUSED_PAD src0_sel:WORD_1 src1_sel:DWORD
	v_pk_fma_f16 v90, v156, v75, v80
	v_pk_fma_f16 v83, v157, v75, v83
	;; [unrolled: 1-line block ×6, first 2 shown]
	v_mul_u32_u24_sdwa v76, v153, v45 dst_sel:DWORD dst_unused:UNUSED_PAD src0_sel:WORD_1 src1_sel:DWORD
	v_pk_fma_f16 v88, v155, v85, v69
	v_pk_fma_f16 v89, v155, v86, v79
	;; [unrolled: 1-line block ×8, first 2 shown]
	ds_read_b128 v[62:65], v39 offset:272
	s_waitcnt lgkmcnt(2)
	v_mul_u32_u24_sdwa v98, v53, v45 dst_sel:DWORD dst_unused:UNUSED_PAD src0_sel:WORD_0 src1_sel:DWORD
	v_pk_fma_f16 v95, v157, v85, v67
	v_pk_fma_f16 v84, v157, v86, v84
	;; [unrolled: 1-line block ×5, first 2 shown]
	ds_read_b128 v[66:69], v39 offset:288
	ds_read_b128 v[74:77], v39 offset:304
	v_mul_u32_u24_sdwa v53, v53, v45 dst_sel:DWORD dst_unused:UNUSED_PAD src0_sel:WORD_1 src1_sel:DWORD
	v_mul_u32_u24_sdwa v99, v54, v45 dst_sel:DWORD dst_unused:UNUSED_PAD src0_sel:WORD_0 src1_sel:DWORD
	v_mul_u32_u24_sdwa v54, v54, v45 dst_sel:DWORD dst_unused:UNUSED_PAD src0_sel:WORD_1 src1_sel:DWORD
	s_waitcnt lgkmcnt(3)
	v_pk_fma_f16 v100, v58, v98, v78
	ds_read2_b64 v[78:81], v57 offset0:64 offset1:96
	v_pk_fma_f16 v87, v58, v53, v87
	v_pk_fma_f16 v88, v58, v99, v88
	;; [unrolled: 1-line block ×14, first 2 shown]
	v_mul_u32_u24_sdwa v95, v55, v45 dst_sel:DWORD dst_unused:UNUSED_PAD src0_sel:WORD_0 src1_sel:DWORD
	v_pk_fma_f16 v61, v61, v54, v86
	v_mul_u32_u24_sdwa v86, v55, v45 dst_sel:DWORD dst_unused:UNUSED_PAD src0_sel:WORD_1 src1_sel:DWORD
	v_mul_u32_u24_sdwa v96, v56, v45 dst_sel:DWORD dst_unused:UNUSED_PAD src0_sel:WORD_0 src1_sel:DWORD
	v_mul_u32_u24_sdwa v97, v56, v45 dst_sel:DWORD dst_unused:UNUSED_PAD src0_sel:WORD_1 src1_sel:DWORD
	ds_read2_b64 v[53:56], v57 offset0:128 offset1:160
	s_waitcnt lgkmcnt(1)
	v_pk_fma_f16 v98, v78, v95, v100
	v_pk_fma_f16 v87, v78, v86, v87
	;; [unrolled: 1-line block ×15, first 2 shown]
	v_mul_u32_u24_sdwa v94, v62, v45 dst_sel:DWORD dst_unused:UNUSED_PAD src0_sel:WORD_0 src1_sel:DWORD
	v_pk_fma_f16 v81, v81, v97, v61
	v_mul_u32_u24_sdwa v62, v62, v45 dst_sel:DWORD dst_unused:UNUSED_PAD src0_sel:WORD_1 src1_sel:DWORD
	v_mul_u32_u24_sdwa v95, v63, v45 dst_sel:DWORD dst_unused:UNUSED_PAD src0_sel:WORD_0 src1_sel:DWORD
	v_mul_u32_u24_sdwa v63, v63, v45 dst_sel:DWORD dst_unused:UNUSED_PAD src0_sel:WORD_1 src1_sel:DWORD
	ds_read2_b64 v[58:61], v57 offset0:192 offset1:224
	s_waitcnt lgkmcnt(1)
	v_pk_fma_f16 v96, v53, v94, v98
	v_pk_fma_f16 v87, v53, v62, v87
	;; [unrolled: 1-line block ×16, first 2 shown]
	ds_read2_b64 v[53:56], v52 offset1:32
	v_mul_u32_u24_sdwa v86, v64, v45 dst_sel:DWORD dst_unused:UNUSED_PAD src0_sel:WORD_0 src1_sel:DWORD
	v_mul_u32_u24_sdwa v64, v64, v45 dst_sel:DWORD dst_unused:UNUSED_PAD src0_sel:WORD_1 src1_sel:DWORD
	v_mul_u32_u24_sdwa v81, v65, v45 dst_sel:DWORD dst_unused:UNUSED_PAD src0_sel:WORD_0 src1_sel:DWORD
	v_mul_u32_u24_sdwa v65, v65, v45 dst_sel:DWORD dst_unused:UNUSED_PAD src0_sel:WORD_1 src1_sel:DWORD
	s_or_b32 s18, s6, 64
	s_waitcnt lgkmcnt(1)
	v_pk_fma_f16 v94, v58, v86, v96
	v_pk_fma_f16 v87, v58, v64, v87
	;; [unrolled: 1-line block ×15, first 2 shown]
	v_mul_u32_u24_sdwa v81, v66, v45 dst_sel:DWORD dst_unused:UNUSED_PAD src0_sel:WORD_0 src1_sel:DWORD
	v_pk_fma_f16 v63, v61, v65, v63
	v_mul_u32_u24_sdwa v65, v66, v45 dst_sel:DWORD dst_unused:UNUSED_PAD src0_sel:WORD_1 src1_sel:DWORD
	v_mul_u32_u24_sdwa v66, v67, v45 dst_sel:DWORD dst_unused:UNUSED_PAD src0_sel:WORD_0 src1_sel:DWORD
	v_mul_u32_u24_sdwa v67, v67, v45 dst_sel:DWORD dst_unused:UNUSED_PAD src0_sel:WORD_1 src1_sel:DWORD
	ds_read2_b64 v[58:61], v52 offset0:64 offset1:96
	s_waitcnt lgkmcnt(1)
	v_pk_fma_f16 v85, v53, v81, v94
	v_pk_fma_f16 v86, v53, v65, v87
	;; [unrolled: 1-line block ×16, first 2 shown]
	ds_read2_b64 v[53:56], v52 offset0:128 offset1:160
	v_mul_u32_u24_sdwa v65, v68, v45 dst_sel:DWORD dst_unused:UNUSED_PAD src0_sel:WORD_0 src1_sel:DWORD
	v_mul_u32_u24_sdwa v66, v68, v45 dst_sel:DWORD dst_unused:UNUSED_PAD src0_sel:WORD_1 src1_sel:DWORD
	v_mul_u32_u24_sdwa v67, v69, v45 dst_sel:DWORD dst_unused:UNUSED_PAD src0_sel:WORD_0 src1_sel:DWORD
	v_mul_u32_u24_sdwa v68, v69, v45 dst_sel:DWORD dst_unused:UNUSED_PAD src0_sel:WORD_1 src1_sel:DWORD
	s_mul_hi_i32 s19, s18, s8
	s_waitcnt lgkmcnt(1)
	v_pk_fma_f16 v69, v58, v65, v85
	v_pk_fma_f16 v84, v58, v66, v86
	;; [unrolled: 1-line block ×15, first 2 shown]
	v_mul_u32_u24_sdwa v66, v74, v45 dst_sel:DWORD dst_unused:UNUSED_PAD src0_sel:WORD_0 src1_sel:DWORD
	v_mul_u32_u24_sdwa v67, v74, v45 dst_sel:DWORD dst_unused:UNUSED_PAD src0_sel:WORD_1 src1_sel:DWORD
	v_pk_fma_f16 v63, v61, v68, v63
	v_mul_u32_u24_sdwa v68, v75, v45 dst_sel:DWORD dst_unused:UNUSED_PAD src0_sel:WORD_0 src1_sel:DWORD
	v_mul_u32_u24_sdwa v74, v75, v45 dst_sel:DWORD dst_unused:UNUSED_PAD src0_sel:WORD_1 src1_sel:DWORD
	ds_read2_b64 v[58:61], v52 offset0:192 offset1:224
	s_waitcnt lgkmcnt(1)
	v_pk_fma_f16 v69, v53, v66, v69
	v_pk_fma_f16 v75, v53, v67, v84
	;; [unrolled: 1-line block ×16, first 2 shown]
	ds_read_b128 v[53:56], v39 offset:320
	ds_read2_b64 v[62:65], v49 offset1:32
	v_mul_u32_u24_sdwa v89, v76, v45 dst_sel:DWORD dst_unused:UNUSED_PAD src0_sel:WORD_0 src1_sel:DWORD
	v_mul_u32_u24_sdwa v76, v76, v45 dst_sel:DWORD dst_unused:UNUSED_PAD src0_sel:WORD_1 src1_sel:DWORD
	v_mul_u32_u24_sdwa v90, v77, v45 dst_sel:DWORD dst_unused:UNUSED_PAD src0_sel:WORD_0 src1_sel:DWORD
	v_mul_u32_u24_sdwa v77, v77, v45 dst_sel:DWORD dst_unused:UNUSED_PAD src0_sel:WORD_1 src1_sel:DWORD
	s_mul_i32 s18, s18, s8
	s_waitcnt lgkmcnt(2)
	v_pk_fma_f16 v91, v58, v89, v69
	v_pk_fma_f16 v75, v58, v76, v75
	;; [unrolled: 1-line block ×16, first 2 shown]
	ds_read2_b64 v[58:61], v49 offset0:64 offset1:96
	ds_read_b128 v[66:69], v39 offset:336
	s_waitcnt lgkmcnt(3)
	v_mul_u32_u24_sdwa v92, v53, v45 dst_sel:DWORD dst_unused:UNUSED_PAD src0_sel:WORD_0 src1_sel:DWORD
	v_mul_u32_u24_sdwa v53, v53, v45 dst_sel:DWORD dst_unused:UNUSED_PAD src0_sel:WORD_1 src1_sel:DWORD
	v_mul_u32_u24_sdwa v77, v54, v45 dst_sel:DWORD dst_unused:UNUSED_PAD src0_sel:WORD_0 src1_sel:DWORD
	v_mul_u32_u24_sdwa v54, v54, v45 dst_sel:DWORD dst_unused:UNUSED_PAD src0_sel:WORD_1 src1_sel:DWORD
	s_lshl_b64 s[18:19], s[18:19], 2
	s_waitcnt lgkmcnt(2)
	v_pk_fma_f16 v91, v62, v92, v91
	v_pk_fma_f16 v75, v62, v53, v75
	;; [unrolled: 1-line block ×15, first 2 shown]
	v_mul_u32_u24_sdwa v87, v55, v45 dst_sel:DWORD dst_unused:UNUSED_PAD src0_sel:WORD_0 src1_sel:DWORD
	v_pk_fma_f16 v65, v65, v54, v74
	v_mul_u32_u24_sdwa v74, v55, v45 dst_sel:DWORD dst_unused:UNUSED_PAD src0_sel:WORD_1 src1_sel:DWORD
	v_mul_u32_u24_sdwa v88, v56, v45 dst_sel:DWORD dst_unused:UNUSED_PAD src0_sel:WORD_0 src1_sel:DWORD
	v_mul_u32_u24_sdwa v89, v56, v45 dst_sel:DWORD dst_unused:UNUSED_PAD src0_sel:WORD_1 src1_sel:DWORD
	ds_read2_b64 v[53:56], v49 offset0:128 offset1:160
	s_waitcnt lgkmcnt(2)
	v_pk_fma_f16 v90, v58, v87, v91
	v_pk_fma_f16 v75, v58, v74, v75
	;; [unrolled: 1-line block ×16, first 2 shown]
	ds_read2_b64 v[58:61], v49 offset0:192 offset1:224
	s_waitcnt lgkmcnt(2)
	v_mul_u32_u24_sdwa v77, v66, v45 dst_sel:DWORD dst_unused:UNUSED_PAD src0_sel:WORD_0 src1_sel:DWORD
	v_mul_u32_u24_sdwa v66, v66, v45 dst_sel:DWORD dst_unused:UNUSED_PAD src0_sel:WORD_1 src1_sel:DWORD
	v_mul_u32_u24_sdwa v87, v67, v45 dst_sel:DWORD dst_unused:UNUSED_PAD src0_sel:WORD_0 src1_sel:DWORD
	v_mul_u32_u24_sdwa v67, v67, v45 dst_sel:DWORD dst_unused:UNUSED_PAD src0_sel:WORD_1 src1_sel:DWORD
	s_add_u32 s18, s12, s18
	s_waitcnt lgkmcnt(1)
	v_pk_fma_f16 v88, v53, v77, v90
	v_pk_fma_f16 v75, v53, v66, v75
	;; [unrolled: 1-line block ×16, first 2 shown]
	ds_read_b128 v[53:56], v39 offset:352
	v_mul_u32_u24_sdwa v67, v68, v45 dst_sel:DWORD dst_unused:UNUSED_PAD src0_sel:WORD_0 src1_sel:DWORD
	v_mul_u32_u24_sdwa v68, v68, v45 dst_sel:DWORD dst_unused:UNUSED_PAD src0_sel:WORD_1 src1_sel:DWORD
	v_mul_u32_u24_sdwa v80, v69, v45 dst_sel:DWORD dst_unused:UNUSED_PAD src0_sel:WORD_0 src1_sel:DWORD
	v_mul_u32_u24_sdwa v87, v69, v45 dst_sel:DWORD dst_unused:UNUSED_PAD src0_sel:WORD_1 src1_sel:DWORD
	ds_read2_b64 v[62:65], v50 offset1:32
	s_waitcnt lgkmcnt(2)
	v_pk_fma_f16 v88, v58, v67, v88
	v_pk_fma_f16 v75, v58, v68, v75
	;; [unrolled: 1-line block ×16, first 2 shown]
	ds_read2_b64 v[58:61], v50 offset0:64 offset1:96
	ds_read_b128 v[66:69], v39 offset:368
	s_waitcnt lgkmcnt(3)
	v_mul_u32_u24_sdwa v80, v53, v45 dst_sel:DWORD dst_unused:UNUSED_PAD src0_sel:WORD_0 src1_sel:DWORD
	v_mul_u32_u24_sdwa v53, v53, v45 dst_sel:DWORD dst_unused:UNUSED_PAD src0_sel:WORD_1 src1_sel:DWORD
	v_mul_u32_u24_sdwa v87, v54, v45 dst_sel:DWORD dst_unused:UNUSED_PAD src0_sel:WORD_0 src1_sel:DWORD
	v_mul_u32_u24_sdwa v54, v54, v45 dst_sel:DWORD dst_unused:UNUSED_PAD src0_sel:WORD_1 src1_sel:DWORD
	s_addc_u32 s19, s13, s19
	s_waitcnt lgkmcnt(2)
	v_pk_fma_f16 v88, v62, v80, v88
	v_pk_fma_f16 v75, v62, v53, v75
	;; [unrolled: 1-line block ×15, first 2 shown]
	v_mul_u32_u24_sdwa v87, v55, v45 dst_sel:DWORD dst_unused:UNUSED_PAD src0_sel:WORD_0 src1_sel:DWORD
	v_pk_fma_f16 v65, v65, v54, v76
	v_mul_u32_u24_sdwa v76, v55, v45 dst_sel:DWORD dst_unused:UNUSED_PAD src0_sel:WORD_1 src1_sel:DWORD
	v_mul_u32_u24_sdwa v89, v56, v45 dst_sel:DWORD dst_unused:UNUSED_PAD src0_sel:WORD_0 src1_sel:DWORD
	v_mul_u32_u24_sdwa v90, v56, v45 dst_sel:DWORD dst_unused:UNUSED_PAD src0_sel:WORD_1 src1_sel:DWORD
	ds_read2_b64 v[53:56], v50 offset0:128 offset1:160
	s_waitcnt lgkmcnt(2)
	v_pk_fma_f16 v88, v58, v87, v88
	v_pk_fma_f16 v75, v58, v76, v75
	;; [unrolled: 1-line block ×16, first 2 shown]
	ds_read2_b64 v[58:61], v50 offset0:192 offset1:224
	v_add_co_u32 v159, vcc_lo, s18, v16
	v_add_co_ci_u32_e64 v160, null, s19, v17, vcc_lo
	v_add_co_u32 v161, vcc_lo, s18, v18
	v_add_co_ci_u32_e64 v162, null, s19, v19, vcc_lo
	;; [unrolled: 2-line block ×4, first 2 shown]
	v_add_co_u32 v161, vcc_lo, s18, v20
	s_waitcnt lgkmcnt(2)
	v_mul_u32_u24_sdwa v80, v66, v45 dst_sel:DWORD dst_unused:UNUSED_PAD src0_sel:WORD_0 src1_sel:DWORD
	v_mul_u32_u24_sdwa v66, v66, v45 dst_sel:DWORD dst_unused:UNUSED_PAD src0_sel:WORD_1 src1_sel:DWORD
	v_mul_u32_u24_sdwa v87, v67, v45 dst_sel:DWORD dst_unused:UNUSED_PAD src0_sel:WORD_0 src1_sel:DWORD
	v_add_co_ci_u32_e64 v162, null, s19, v21, vcc_lo
	v_add_co_u32 v165, vcc_lo, s18, v22
	v_add_co_ci_u32_e64 v166, null, s19, v23, vcc_lo
	v_add_co_u32 v167, vcc_lo, v161, v37
	v_mul_u32_u24_sdwa v67, v67, v45 dst_sel:DWORD dst_unused:UNUSED_PAD src0_sel:WORD_1 src1_sel:DWORD
	s_waitcnt lgkmcnt(1)
	v_pk_fma_f16 v88, v53, v80, v88
	v_pk_fma_f16 v75, v53, v66, v75
	;; [unrolled: 1-line block ×3, first 2 shown]
	v_mul_u32_u24_sdwa v187, v68, v45 dst_sel:DWORD dst_unused:UNUSED_PAD src0_sel:WORD_0 src1_sel:DWORD
	v_mul_u32_u24_sdwa v188, v68, v45 dst_sel:DWORD dst_unused:UNUSED_PAD src0_sel:WORD_1 src1_sel:DWORD
	v_mul_u32_u24_sdwa v189, v69, v45 dst_sel:DWORD dst_unused:UNUSED_PAD src0_sel:WORD_0 src1_sel:DWORD
	v_add_co_ci_u32_e64 v168, null, 0, v162, vcc_lo
	v_add_co_u32 v171, vcc_lo, v165, v37
	v_add_co_ci_u32_e64 v172, null, 0, v166, vcc_lo
	v_pk_fma_f16 v175, v53, v67, v62
	v_pk_fma_f16 v176, v54, v80, v78
	;; [unrolled: 1-line block ×13, first 2 shown]
	v_mul_u32_u24_sdwa v191, v69, v45 dst_sel:DWORD dst_unused:UNUSED_PAD src0_sel:WORD_1 src1_sel:DWORD
	s_waitcnt lgkmcnt(0)
	v_pk_fma_f16 v192, v58, v187, v88
	v_pk_fma_f16 v193, v58, v188, v75
	;; [unrolled: 1-line block ×3, first 2 shown]
	ds_read2_b64 v[53:56], v51 offset1:32
	ds_read2_b64 v[62:65], v51 offset0:64 offset1:96
	ds_read2_b64 v[66:69], v51 offset0:128 offset1:160
	ds_read_b128 v[74:77], v39 offset:384
	ds_read_b128 v[78:81], v39 offset:400
	ds_read2_b64 v[83:86], v51 offset0:192 offset1:224
	ds_read2_b64 v[87:90], v48 offset1:32
	ds_read2_b64 v[91:94], v48 offset0:64 offset1:96
	ds_read2_b64 v[95:98], v48 offset0:128 offset1:160
	ds_read_b128 v[99:102], v39 offset:416
	ds_read_b128 v[103:106], v39 offset:432
	ds_read2_b64 v[107:110], v48 offset0:192 offset1:224
	;; [unrolled: 6-line block ×4, first 2 shown]
	s_waitcnt lgkmcnt(0)
	s_barrier
	buffer_gl0_inv
	s_clause 0x3
	global_load_dwordx4 v[159:162], v[159:160], off
	global_load_dwordx4 v[163:166], v[163:164], off
	;; [unrolled: 1-line block ×4, first 2 shown]
	v_pk_fma_f16 v58, v58, v191, v175
	v_pk_fma_f16 v175, v59, v187, v176
	v_pk_fma_f16 v176, v59, v188, v177
	v_pk_fma_f16 v177, v59, v189, v178
	v_pk_fma_f16 v59, v59, v191, v179
	v_pk_fma_f16 v178, v60, v187, v180
	v_pk_fma_f16 v179, v60, v188, v181
	v_pk_fma_f16 v180, v60, v189, v182
	v_pk_fma_f16 v60, v60, v191, v183
	v_pk_fma_f16 v181, v61, v187, v184
	v_pk_fma_f16 v182, v61, v188, v185
	v_pk_fma_f16 v183, v61, v189, v186
	v_mul_u32_u24_sdwa v184, v74, v45 dst_sel:DWORD dst_unused:UNUSED_PAD src0_sel:WORD_0 src1_sel:DWORD
	v_mul_u32_u24_sdwa v74, v74, v45 dst_sel:DWORD dst_unused:UNUSED_PAD src0_sel:WORD_1 src1_sel:DWORD
	v_mul_u32_u24_sdwa v185, v75, v45 dst_sel:DWORD dst_unused:UNUSED_PAD src0_sel:WORD_0 src1_sel:DWORD
	v_mul_u32_u24_sdwa v75, v75, v45 dst_sel:DWORD dst_unused:UNUSED_PAD src0_sel:WORD_1 src1_sel:DWORD
	v_pk_fma_f16 v61, v61, v191, v190
	v_pk_fma_f16 v186, v53, v184, v192
	v_pk_fma_f16 v187, v53, v74, v193
	v_pk_fma_f16 v188, v53, v185, v194
	v_pk_fma_f16 v53, v53, v75, v58
	v_pk_fma_f16 v58, v54, v184, v175
	v_pk_fma_f16 v175, v54, v74, v176
	v_pk_fma_f16 v176, v54, v185, v177
	v_pk_fma_f16 v54, v54, v75, v59
	v_pk_fma_f16 v59, v55, v184, v178
	v_pk_fma_f16 v177, v55, v74, v179
	v_pk_fma_f16 v178, v55, v185, v180
	v_pk_fma_f16 v55, v55, v75, v60
	v_pk_fma_f16 v60, v56, v184, v181
	v_pk_fma_f16 v74, v56, v74, v182
	v_pk_fma_f16 v179, v56, v185, v183
	v_mul_u32_u24_sdwa v180, v76, v45 dst_sel:DWORD dst_unused:UNUSED_PAD src0_sel:WORD_0 src1_sel:DWORD
	v_mul_u32_u24_sdwa v76, v76, v45 dst_sel:DWORD dst_unused:UNUSED_PAD src0_sel:WORD_1 src1_sel:DWORD
	v_mul_u32_u24_sdwa v181, v77, v45 dst_sel:DWORD dst_unused:UNUSED_PAD src0_sel:WORD_0 src1_sel:DWORD
	v_mul_u32_u24_sdwa v77, v77, v45 dst_sel:DWORD dst_unused:UNUSED_PAD src0_sel:WORD_1 src1_sel:DWORD
	v_pk_fma_f16 v56, v56, v75, v61
	v_pk_fma_f16 v61, v62, v180, v186
	v_pk_fma_f16 v75, v62, v76, v187
	v_pk_fma_f16 v182, v62, v181, v188
	v_pk_fma_f16 v53, v62, v77, v53
	v_pk_fma_f16 v58, v63, v180, v58
	v_pk_fma_f16 v62, v63, v76, v175
	v_pk_fma_f16 v175, v63, v181, v176
	v_pk_fma_f16 v54, v63, v77, v54
	v_pk_fma_f16 v59, v64, v180, v59
	v_pk_fma_f16 v63, v64, v76, v177
	v_pk_fma_f16 v176, v64, v181, v178
	v_pk_fma_f16 v55, v64, v77, v55
	v_pk_fma_f16 v60, v65, v180, v60
	v_pk_fma_f16 v64, v65, v76, v74
	v_pk_fma_f16 v74, v65, v181, v179
	v_mul_u32_u24_sdwa v76, v78, v45 dst_sel:DWORD dst_unused:UNUSED_PAD src0_sel:WORD_0 src1_sel:DWORD
	v_mul_u32_u24_sdwa v78, v78, v45 dst_sel:DWORD dst_unused:UNUSED_PAD src0_sel:WORD_1 src1_sel:DWORD
	v_mul_u32_u24_sdwa v177, v79, v45 dst_sel:DWORD dst_unused:UNUSED_PAD src0_sel:WORD_0 src1_sel:DWORD
	v_mul_u32_u24_sdwa v79, v79, v45 dst_sel:DWORD dst_unused:UNUSED_PAD src0_sel:WORD_1 src1_sel:DWORD
	v_pk_fma_f16 v56, v65, v77, v56
	v_pk_fma_f16 v61, v66, v76, v61
	v_pk_fma_f16 v65, v66, v78, v75
	v_pk_fma_f16 v75, v66, v177, v182
	v_pk_fma_f16 v53, v66, v79, v53
	v_pk_fma_f16 v58, v67, v76, v58
	v_pk_fma_f16 v62, v67, v78, v62
	v_pk_fma_f16 v66, v67, v177, v175
	v_pk_fma_f16 v54, v67, v79, v54
	v_pk_fma_f16 v59, v68, v76, v59
	v_pk_fma_f16 v63, v68, v78, v63
	v_pk_fma_f16 v67, v68, v177, v176
	v_pk_fma_f16 v55, v68, v79, v55
	v_pk_fma_f16 v60, v69, v76, v60
	v_pk_fma_f16 v64, v69, v78, v64
	v_pk_fma_f16 v68, v69, v177, v74
	v_mul_u32_u24_sdwa v74, v80, v45 dst_sel:DWORD dst_unused:UNUSED_PAD src0_sel:WORD_0 src1_sel:DWORD
	v_mul_u32_u24_sdwa v76, v80, v45 dst_sel:DWORD dst_unused:UNUSED_PAD src0_sel:WORD_1 src1_sel:DWORD
	v_mul_u32_u24_sdwa v77, v81, v45 dst_sel:DWORD dst_unused:UNUSED_PAD src0_sel:WORD_0 src1_sel:DWORD
	v_mul_u32_u24_sdwa v78, v81, v45 dst_sel:DWORD dst_unused:UNUSED_PAD src0_sel:WORD_1 src1_sel:DWORD
	v_pk_fma_f16 v56, v69, v79, v56
	v_pk_fma_f16 v61, v83, v74, v61
	v_pk_fma_f16 v65, v83, v76, v65
	v_pk_fma_f16 v69, v83, v77, v75
	v_pk_fma_f16 v53, v83, v78, v53
	v_pk_fma_f16 v58, v84, v74, v58
	;; [unrolled: 1-line block ×12, first 2 shown]
	v_mul_u32_u24_sdwa v74, v99, v45 dst_sel:DWORD dst_unused:UNUSED_PAD src0_sel:WORD_0 src1_sel:DWORD
	v_mul_u32_u24_sdwa v75, v99, v45 dst_sel:DWORD dst_unused:UNUSED_PAD src0_sel:WORD_1 src1_sel:DWORD
	v_mul_u32_u24_sdwa v77, v100, v45 dst_sel:DWORD dst_unused:UNUSED_PAD src0_sel:WORD_1 src1_sel:DWORD
	v_pk_fma_f16 v56, v86, v78, v56
	v_mul_u32_u24_sdwa v78, v102, v45 dst_sel:DWORD dst_unused:UNUSED_PAD src0_sel:WORD_1 src1_sel:DWORD
	v_pk_fma_f16 v61, v87, v74, v61
	v_pk_fma_f16 v65, v87, v75, v65
	;; [unrolled: 1-line block ×11, first 2 shown]
	v_mul_u32_u24_sdwa v74, v101, v45 dst_sel:DWORD dst_unused:UNUSED_PAD src0_sel:WORD_0 src1_sel:DWORD
	v_mul_u32_u24_sdwa v75, v101, v45 dst_sel:DWORD dst_unused:UNUSED_PAD src0_sel:WORD_1 src1_sel:DWORD
	v_pk_fma_f16 v56, v90, v77, v56
	v_pk_fma_f16 v53, v91, v78, v53
	v_pk_fma_f16 v54, v92, v78, v54
	v_pk_fma_f16 v61, v91, v74, v61
	v_pk_fma_f16 v65, v91, v75, v65
	v_pk_fma_f16 v58, v92, v74, v58
	v_pk_fma_f16 v62, v92, v75, v62
	v_pk_fma_f16 v59, v93, v74, v59
	v_pk_fma_f16 v63, v93, v75, v63
	v_pk_fma_f16 v55, v93, v78, v55
	v_pk_fma_f16 v60, v94, v74, v60
	v_pk_fma_f16 v64, v94, v75, v64
	v_mul_u32_u24_sdwa v74, v103, v45 dst_sel:DWORD dst_unused:UNUSED_PAD src0_sel:WORD_0 src1_sel:DWORD
	v_mul_u32_u24_sdwa v75, v103, v45 dst_sel:DWORD dst_unused:UNUSED_PAD src0_sel:WORD_1 src1_sel:DWORD
	v_mul_u32_u24_sdwa v77, v104, v45 dst_sel:DWORD dst_unused:UNUSED_PAD src0_sel:WORD_1 src1_sel:DWORD
	v_mul_u32_u24_sdwa v76, v100, v45 dst_sel:DWORD dst_unused:UNUSED_PAD src0_sel:WORD_0 src1_sel:DWORD
	v_pk_fma_f16 v56, v94, v78, v56
	v_pk_fma_f16 v61, v95, v74, v61
	v_pk_fma_f16 v65, v95, v75, v65
	v_pk_fma_f16 v53, v95, v77, v53
	v_pk_fma_f16 v58, v96, v74, v58
	v_pk_fma_f16 v62, v96, v75, v62
	v_pk_fma_f16 v54, v96, v77, v54
	v_pk_fma_f16 v59, v97, v74, v59
	v_pk_fma_f16 v63, v97, v75, v63
	v_pk_fma_f16 v55, v97, v77, v55
	v_pk_fma_f16 v60, v98, v74, v60
	v_pk_fma_f16 v64, v98, v75, v64
	v_mul_u32_u24_sdwa v74, v105, v45 dst_sel:DWORD dst_unused:UNUSED_PAD src0_sel:WORD_0 src1_sel:DWORD
	v_mul_u32_u24_sdwa v75, v105, v45 dst_sel:DWORD dst_unused:UNUSED_PAD src0_sel:WORD_1 src1_sel:DWORD
	v_mul_u32_u24_sdwa v78, v106, v45 dst_sel:DWORD dst_unused:UNUSED_PAD src0_sel:WORD_1 src1_sel:DWORD
	v_pk_fma_f16 v69, v87, v76, v69
	v_pk_fma_f16 v66, v88, v76, v66
	v_pk_fma_f16 v67, v89, v76, v67
	v_pk_fma_f16 v68, v90, v76, v68
	v_mul_u32_u24_sdwa v76, v102, v45 dst_sel:DWORD dst_unused:UNUSED_PAD src0_sel:WORD_0 src1_sel:DWORD
	v_pk_fma_f16 v56, v98, v77, v56
	v_pk_fma_f16 v61, v107, v74, v61
	v_pk_fma_f16 v65, v107, v75, v65
	v_pk_fma_f16 v53, v107, v78, v53
	v_pk_fma_f16 v58, v108, v74, v58
	v_pk_fma_f16 v62, v108, v75, v62
	v_pk_fma_f16 v54, v108, v78, v54
	v_pk_fma_f16 v59, v109, v74, v59
	v_pk_fma_f16 v63, v109, v75, v63
	v_pk_fma_f16 v55, v109, v78, v55
	v_pk_fma_f16 v60, v110, v74, v60
	v_pk_fma_f16 v64, v110, v75, v64
	v_mul_u32_u24_sdwa v74, v123, v45 dst_sel:DWORD dst_unused:UNUSED_PAD src0_sel:WORD_0 src1_sel:DWORD
	v_mul_u32_u24_sdwa v75, v123, v45 dst_sel:DWORD dst_unused:UNUSED_PAD src0_sel:WORD_1 src1_sel:DWORD
	v_mul_u32_u24_sdwa v77, v124, v45 dst_sel:DWORD dst_unused:UNUSED_PAD src0_sel:WORD_1 src1_sel:DWORD
	v_pk_fma_f16 v69, v91, v76, v69
	v_pk_fma_f16 v66, v92, v76, v66
	v_pk_fma_f16 v67, v93, v76, v67
	v_pk_fma_f16 v68, v94, v76, v68
	;; [unrolled: 20-line block ×8, first 2 shown]
	v_mul_u32_u24_sdwa v76, v148, v45 dst_sel:DWORD dst_unused:UNUSED_PAD src0_sel:WORD_0 src1_sel:DWORD
	v_pk_fma_f16 v78, v142, v78, v56
	v_pk_fma_f16 v61, v143, v74, v61
	;; [unrolled: 1-line block ×9, first 2 shown]
	v_mul_u32_u24_sdwa v75, v153, v45 dst_sel:DWORD dst_unused:UNUSED_PAD src0_sel:WORD_0 src1_sel:DWORD
	s_waitcnt vmcnt(3)
	ds_write_b128 v40, v[159:162]
	s_waitcnt vmcnt(2)
	ds_write_b128 v41, v[163:166]
	;; [unrolled: 2-line block ×4, first 2 shown]
	s_waitcnt lgkmcnt(0)
	s_barrier
	buffer_gl0_inv
	ds_read_b128 v[53:56], v39 offset:512
	v_pk_fma_f16 v69, v135, v76, v69
	v_pk_fma_f16 v66, v136, v76, v66
	v_pk_fma_f16 v67, v137, v76, v67
	v_pk_fma_f16 v68, v138, v76, v68
	v_mul_u32_u24_sdwa v76, v150, v45 dst_sel:DWORD dst_unused:UNUSED_PAD src0_sel:WORD_0 src1_sel:DWORD
	v_pk_fma_f16 v80, v144, v74, v58
	v_pk_fma_f16 v83, v145, v74, v59
	;; [unrolled: 1-line block ×5, first 2 shown]
	ds_read2_b64 v[58:61], v57 offset1:32
	v_pk_fma_f16 v69, v139, v76, v69
	v_pk_fma_f16 v66, v140, v76, v66
	;; [unrolled: 1-line block ×4, first 2 shown]
	v_mul_u32_u24_sdwa v76, v152, v45 dst_sel:DWORD dst_unused:UNUSED_PAD src0_sel:WORD_0 src1_sel:DWORD
	v_mul_u32_u24_sdwa v85, v154, v45 dst_sel:DWORD dst_unused:UNUSED_PAD src0_sel:WORD_0 src1_sel:DWORD
	v_mul_u32_u24_sdwa v86, v154, v45 dst_sel:DWORD dst_unused:UNUSED_PAD src0_sel:WORD_1 src1_sel:DWORD
	v_pk_fma_f16 v90, v156, v75, v80
	v_pk_fma_f16 v83, v157, v75, v83
	;; [unrolled: 1-line block ×6, first 2 shown]
	v_mul_u32_u24_sdwa v76, v153, v45 dst_sel:DWORD dst_unused:UNUSED_PAD src0_sel:WORD_1 src1_sel:DWORD
	v_pk_fma_f16 v88, v155, v85, v69
	v_pk_fma_f16 v89, v155, v86, v79
	;; [unrolled: 1-line block ×8, first 2 shown]
	ds_read_b128 v[62:65], v39 offset:528
	s_waitcnt lgkmcnt(2)
	v_mul_u32_u24_sdwa v98, v53, v45 dst_sel:DWORD dst_unused:UNUSED_PAD src0_sel:WORD_0 src1_sel:DWORD
	v_pk_fma_f16 v95, v157, v85, v67
	v_pk_fma_f16 v84, v157, v86, v84
	;; [unrolled: 1-line block ×5, first 2 shown]
	ds_read_b128 v[66:69], v39 offset:544
	ds_read_b128 v[74:77], v39 offset:560
	v_mul_u32_u24_sdwa v53, v53, v45 dst_sel:DWORD dst_unused:UNUSED_PAD src0_sel:WORD_1 src1_sel:DWORD
	v_mul_u32_u24_sdwa v99, v54, v45 dst_sel:DWORD dst_unused:UNUSED_PAD src0_sel:WORD_0 src1_sel:DWORD
	v_mul_u32_u24_sdwa v54, v54, v45 dst_sel:DWORD dst_unused:UNUSED_PAD src0_sel:WORD_1 src1_sel:DWORD
	s_waitcnt lgkmcnt(3)
	v_pk_fma_f16 v100, v58, v98, v78
	ds_read2_b64 v[78:81], v57 offset0:64 offset1:96
	v_pk_fma_f16 v87, v58, v53, v87
	v_pk_fma_f16 v88, v58, v99, v88
	;; [unrolled: 1-line block ×14, first 2 shown]
	v_mul_u32_u24_sdwa v95, v55, v45 dst_sel:DWORD dst_unused:UNUSED_PAD src0_sel:WORD_0 src1_sel:DWORD
	v_pk_fma_f16 v61, v61, v54, v86
	v_mul_u32_u24_sdwa v86, v55, v45 dst_sel:DWORD dst_unused:UNUSED_PAD src0_sel:WORD_1 src1_sel:DWORD
	v_mul_u32_u24_sdwa v96, v56, v45 dst_sel:DWORD dst_unused:UNUSED_PAD src0_sel:WORD_0 src1_sel:DWORD
	v_mul_u32_u24_sdwa v97, v56, v45 dst_sel:DWORD dst_unused:UNUSED_PAD src0_sel:WORD_1 src1_sel:DWORD
	ds_read2_b64 v[53:56], v57 offset0:128 offset1:160
	s_waitcnt lgkmcnt(1)
	v_pk_fma_f16 v98, v78, v95, v100
	v_pk_fma_f16 v87, v78, v86, v87
	;; [unrolled: 1-line block ×15, first 2 shown]
	v_mul_u32_u24_sdwa v94, v62, v45 dst_sel:DWORD dst_unused:UNUSED_PAD src0_sel:WORD_0 src1_sel:DWORD
	v_pk_fma_f16 v81, v81, v97, v61
	v_mul_u32_u24_sdwa v62, v62, v45 dst_sel:DWORD dst_unused:UNUSED_PAD src0_sel:WORD_1 src1_sel:DWORD
	v_mul_u32_u24_sdwa v95, v63, v45 dst_sel:DWORD dst_unused:UNUSED_PAD src0_sel:WORD_0 src1_sel:DWORD
	v_mul_u32_u24_sdwa v63, v63, v45 dst_sel:DWORD dst_unused:UNUSED_PAD src0_sel:WORD_1 src1_sel:DWORD
	ds_read2_b64 v[58:61], v57 offset0:192 offset1:224
	s_waitcnt lgkmcnt(1)
	v_pk_fma_f16 v96, v53, v94, v98
	v_pk_fma_f16 v87, v53, v62, v87
	;; [unrolled: 1-line block ×16, first 2 shown]
	ds_read2_b64 v[53:56], v52 offset1:32
	v_mul_u32_u24_sdwa v86, v64, v45 dst_sel:DWORD dst_unused:UNUSED_PAD src0_sel:WORD_0 src1_sel:DWORD
	v_mul_u32_u24_sdwa v64, v64, v45 dst_sel:DWORD dst_unused:UNUSED_PAD src0_sel:WORD_1 src1_sel:DWORD
	v_mul_u32_u24_sdwa v81, v65, v45 dst_sel:DWORD dst_unused:UNUSED_PAD src0_sel:WORD_0 src1_sel:DWORD
	v_mul_u32_u24_sdwa v65, v65, v45 dst_sel:DWORD dst_unused:UNUSED_PAD src0_sel:WORD_1 src1_sel:DWORD
	s_or_b32 s18, s6, 0x60
	s_waitcnt lgkmcnt(1)
	v_pk_fma_f16 v94, v58, v86, v96
	v_pk_fma_f16 v87, v58, v64, v87
	;; [unrolled: 1-line block ×15, first 2 shown]
	v_mul_u32_u24_sdwa v81, v66, v45 dst_sel:DWORD dst_unused:UNUSED_PAD src0_sel:WORD_0 src1_sel:DWORD
	v_pk_fma_f16 v63, v61, v65, v63
	v_mul_u32_u24_sdwa v65, v66, v45 dst_sel:DWORD dst_unused:UNUSED_PAD src0_sel:WORD_1 src1_sel:DWORD
	v_mul_u32_u24_sdwa v66, v67, v45 dst_sel:DWORD dst_unused:UNUSED_PAD src0_sel:WORD_0 src1_sel:DWORD
	v_mul_u32_u24_sdwa v67, v67, v45 dst_sel:DWORD dst_unused:UNUSED_PAD src0_sel:WORD_1 src1_sel:DWORD
	ds_read2_b64 v[58:61], v52 offset0:64 offset1:96
	s_waitcnt lgkmcnt(1)
	v_pk_fma_f16 v85, v53, v81, v94
	v_pk_fma_f16 v86, v53, v65, v87
	v_pk_fma_f16 v87, v53, v66, v88
	v_pk_fma_f16 v78, v53, v67, v78
	v_pk_fma_f16 v88, v54, v81, v89
	v_pk_fma_f16 v89, v54, v65, v90
	v_pk_fma_f16 v90, v54, v66, v91
	v_pk_fma_f16 v79, v54, v67, v79
	v_pk_fma_f16 v83, v55, v81, v83
	v_pk_fma_f16 v91, v55, v65, v92
	v_pk_fma_f16 v92, v55, v66, v93
	v_pk_fma_f16 v80, v55, v67, v80
	v_pk_fma_f16 v81, v56, v81, v84
	v_pk_fma_f16 v62, v56, v65, v62
	v_pk_fma_f16 v64, v56, v66, v64
	v_pk_fma_f16 v63, v56, v67, v63
	ds_read2_b64 v[53:56], v52 offset0:128 offset1:160
	v_mul_u32_u24_sdwa v65, v68, v45 dst_sel:DWORD dst_unused:UNUSED_PAD src0_sel:WORD_0 src1_sel:DWORD
	v_mul_u32_u24_sdwa v66, v68, v45 dst_sel:DWORD dst_unused:UNUSED_PAD src0_sel:WORD_1 src1_sel:DWORD
	v_mul_u32_u24_sdwa v67, v69, v45 dst_sel:DWORD dst_unused:UNUSED_PAD src0_sel:WORD_0 src1_sel:DWORD
	v_mul_u32_u24_sdwa v68, v69, v45 dst_sel:DWORD dst_unused:UNUSED_PAD src0_sel:WORD_1 src1_sel:DWORD
	s_mul_hi_i32 s19, s18, s8
	s_waitcnt lgkmcnt(1)
	v_pk_fma_f16 v69, v58, v65, v85
	v_pk_fma_f16 v84, v58, v66, v86
	;; [unrolled: 1-line block ×15, first 2 shown]
	v_mul_u32_u24_sdwa v66, v74, v45 dst_sel:DWORD dst_unused:UNUSED_PAD src0_sel:WORD_0 src1_sel:DWORD
	v_mul_u32_u24_sdwa v67, v74, v45 dst_sel:DWORD dst_unused:UNUSED_PAD src0_sel:WORD_1 src1_sel:DWORD
	v_pk_fma_f16 v63, v61, v68, v63
	v_mul_u32_u24_sdwa v68, v75, v45 dst_sel:DWORD dst_unused:UNUSED_PAD src0_sel:WORD_0 src1_sel:DWORD
	v_mul_u32_u24_sdwa v74, v75, v45 dst_sel:DWORD dst_unused:UNUSED_PAD src0_sel:WORD_1 src1_sel:DWORD
	ds_read2_b64 v[58:61], v52 offset0:192 offset1:224
	s_waitcnt lgkmcnt(1)
	v_pk_fma_f16 v69, v53, v66, v69
	v_pk_fma_f16 v75, v53, v67, v84
	;; [unrolled: 1-line block ×16, first 2 shown]
	ds_read_b128 v[53:56], v39 offset:576
	ds_read2_b64 v[62:65], v49 offset1:32
	v_mul_u32_u24_sdwa v89, v76, v45 dst_sel:DWORD dst_unused:UNUSED_PAD src0_sel:WORD_0 src1_sel:DWORD
	v_mul_u32_u24_sdwa v76, v76, v45 dst_sel:DWORD dst_unused:UNUSED_PAD src0_sel:WORD_1 src1_sel:DWORD
	v_mul_u32_u24_sdwa v90, v77, v45 dst_sel:DWORD dst_unused:UNUSED_PAD src0_sel:WORD_0 src1_sel:DWORD
	v_mul_u32_u24_sdwa v77, v77, v45 dst_sel:DWORD dst_unused:UNUSED_PAD src0_sel:WORD_1 src1_sel:DWORD
	s_mul_i32 s18, s18, s8
	s_waitcnt lgkmcnt(2)
	v_pk_fma_f16 v91, v58, v89, v69
	v_pk_fma_f16 v75, v58, v76, v75
	;; [unrolled: 1-line block ×16, first 2 shown]
	ds_read2_b64 v[58:61], v49 offset0:64 offset1:96
	ds_read_b128 v[66:69], v39 offset:592
	s_waitcnt lgkmcnt(3)
	v_mul_u32_u24_sdwa v92, v53, v45 dst_sel:DWORD dst_unused:UNUSED_PAD src0_sel:WORD_0 src1_sel:DWORD
	v_mul_u32_u24_sdwa v53, v53, v45 dst_sel:DWORD dst_unused:UNUSED_PAD src0_sel:WORD_1 src1_sel:DWORD
	v_mul_u32_u24_sdwa v77, v54, v45 dst_sel:DWORD dst_unused:UNUSED_PAD src0_sel:WORD_0 src1_sel:DWORD
	v_mul_u32_u24_sdwa v54, v54, v45 dst_sel:DWORD dst_unused:UNUSED_PAD src0_sel:WORD_1 src1_sel:DWORD
	s_lshl_b64 s[18:19], s[18:19], 2
	s_waitcnt lgkmcnt(2)
	v_pk_fma_f16 v91, v62, v92, v91
	v_pk_fma_f16 v75, v62, v53, v75
	v_pk_fma_f16 v81, v62, v77, v81
	v_pk_fma_f16 v62, v62, v54, v78
	v_pk_fma_f16 v78, v63, v92, v84
	v_pk_fma_f16 v84, v63, v53, v85
	v_pk_fma_f16 v85, v63, v77, v86
	v_pk_fma_f16 v63, v63, v54, v79
	v_pk_fma_f16 v79, v64, v92, v83
	v_pk_fma_f16 v83, v64, v53, v87
	v_pk_fma_f16 v86, v64, v77, v88
	v_pk_fma_f16 v64, v64, v54, v80
	v_pk_fma_f16 v80, v65, v92, v89
	v_pk_fma_f16 v76, v65, v53, v76
	v_pk_fma_f16 v77, v65, v77, v90
	v_mul_u32_u24_sdwa v87, v55, v45 dst_sel:DWORD dst_unused:UNUSED_PAD src0_sel:WORD_0 src1_sel:DWORD
	v_pk_fma_f16 v65, v65, v54, v74
	v_mul_u32_u24_sdwa v74, v55, v45 dst_sel:DWORD dst_unused:UNUSED_PAD src0_sel:WORD_1 src1_sel:DWORD
	v_mul_u32_u24_sdwa v88, v56, v45 dst_sel:DWORD dst_unused:UNUSED_PAD src0_sel:WORD_0 src1_sel:DWORD
	v_mul_u32_u24_sdwa v89, v56, v45 dst_sel:DWORD dst_unused:UNUSED_PAD src0_sel:WORD_1 src1_sel:DWORD
	ds_read2_b64 v[53:56], v49 offset0:128 offset1:160
	s_waitcnt lgkmcnt(2)
	v_pk_fma_f16 v90, v58, v87, v91
	v_pk_fma_f16 v75, v58, v74, v75
	;; [unrolled: 1-line block ×16, first 2 shown]
	ds_read2_b64 v[58:61], v49 offset0:192 offset1:224
	s_waitcnt lgkmcnt(2)
	v_mul_u32_u24_sdwa v77, v66, v45 dst_sel:DWORD dst_unused:UNUSED_PAD src0_sel:WORD_0 src1_sel:DWORD
	v_mul_u32_u24_sdwa v66, v66, v45 dst_sel:DWORD dst_unused:UNUSED_PAD src0_sel:WORD_1 src1_sel:DWORD
	v_mul_u32_u24_sdwa v87, v67, v45 dst_sel:DWORD dst_unused:UNUSED_PAD src0_sel:WORD_0 src1_sel:DWORD
	v_mul_u32_u24_sdwa v67, v67, v45 dst_sel:DWORD dst_unused:UNUSED_PAD src0_sel:WORD_1 src1_sel:DWORD
	s_add_u32 s18, s12, s18
	s_waitcnt lgkmcnt(1)
	v_pk_fma_f16 v88, v53, v77, v90
	v_pk_fma_f16 v75, v53, v66, v75
	;; [unrolled: 1-line block ×16, first 2 shown]
	ds_read_b128 v[53:56], v39 offset:608
	v_mul_u32_u24_sdwa v67, v68, v45 dst_sel:DWORD dst_unused:UNUSED_PAD src0_sel:WORD_0 src1_sel:DWORD
	v_mul_u32_u24_sdwa v68, v68, v45 dst_sel:DWORD dst_unused:UNUSED_PAD src0_sel:WORD_1 src1_sel:DWORD
	v_mul_u32_u24_sdwa v80, v69, v45 dst_sel:DWORD dst_unused:UNUSED_PAD src0_sel:WORD_0 src1_sel:DWORD
	v_mul_u32_u24_sdwa v87, v69, v45 dst_sel:DWORD dst_unused:UNUSED_PAD src0_sel:WORD_1 src1_sel:DWORD
	ds_read2_b64 v[62:65], v50 offset1:32
	s_waitcnt lgkmcnt(2)
	v_pk_fma_f16 v88, v58, v67, v88
	v_pk_fma_f16 v75, v58, v68, v75
	;; [unrolled: 1-line block ×16, first 2 shown]
	ds_read2_b64 v[58:61], v50 offset0:64 offset1:96
	ds_read_b128 v[66:69], v39 offset:624
	s_waitcnt lgkmcnt(3)
	v_mul_u32_u24_sdwa v80, v53, v45 dst_sel:DWORD dst_unused:UNUSED_PAD src0_sel:WORD_0 src1_sel:DWORD
	v_mul_u32_u24_sdwa v53, v53, v45 dst_sel:DWORD dst_unused:UNUSED_PAD src0_sel:WORD_1 src1_sel:DWORD
	v_mul_u32_u24_sdwa v87, v54, v45 dst_sel:DWORD dst_unused:UNUSED_PAD src0_sel:WORD_0 src1_sel:DWORD
	v_mul_u32_u24_sdwa v54, v54, v45 dst_sel:DWORD dst_unused:UNUSED_PAD src0_sel:WORD_1 src1_sel:DWORD
	s_addc_u32 s19, s13, s19
	s_waitcnt lgkmcnt(2)
	v_pk_fma_f16 v88, v62, v80, v88
	v_pk_fma_f16 v75, v62, v53, v75
	;; [unrolled: 1-line block ×15, first 2 shown]
	v_mul_u32_u24_sdwa v87, v55, v45 dst_sel:DWORD dst_unused:UNUSED_PAD src0_sel:WORD_0 src1_sel:DWORD
	v_pk_fma_f16 v65, v65, v54, v76
	v_mul_u32_u24_sdwa v76, v55, v45 dst_sel:DWORD dst_unused:UNUSED_PAD src0_sel:WORD_1 src1_sel:DWORD
	v_mul_u32_u24_sdwa v89, v56, v45 dst_sel:DWORD dst_unused:UNUSED_PAD src0_sel:WORD_0 src1_sel:DWORD
	v_mul_u32_u24_sdwa v90, v56, v45 dst_sel:DWORD dst_unused:UNUSED_PAD src0_sel:WORD_1 src1_sel:DWORD
	ds_read2_b64 v[53:56], v50 offset0:128 offset1:160
	s_waitcnt lgkmcnt(2)
	v_pk_fma_f16 v88, v58, v87, v88
	v_pk_fma_f16 v75, v58, v76, v75
	;; [unrolled: 1-line block ×16, first 2 shown]
	ds_read2_b64 v[58:61], v50 offset0:192 offset1:224
	v_add_co_u32 v159, vcc_lo, s18, v16
	v_add_co_ci_u32_e64 v160, null, s19, v17, vcc_lo
	v_add_co_u32 v161, vcc_lo, s18, v18
	v_add_co_ci_u32_e64 v162, null, s19, v19, vcc_lo
	;; [unrolled: 2-line block ×4, first 2 shown]
	v_add_co_u32 v161, vcc_lo, s18, v20
	s_waitcnt lgkmcnt(2)
	v_mul_u32_u24_sdwa v80, v66, v45 dst_sel:DWORD dst_unused:UNUSED_PAD src0_sel:WORD_0 src1_sel:DWORD
	v_mul_u32_u24_sdwa v66, v66, v45 dst_sel:DWORD dst_unused:UNUSED_PAD src0_sel:WORD_1 src1_sel:DWORD
	v_mul_u32_u24_sdwa v87, v67, v45 dst_sel:DWORD dst_unused:UNUSED_PAD src0_sel:WORD_0 src1_sel:DWORD
	v_add_co_ci_u32_e64 v162, null, s19, v21, vcc_lo
	v_add_co_u32 v165, vcc_lo, s18, v22
	v_add_co_ci_u32_e64 v166, null, s19, v23, vcc_lo
	v_add_co_u32 v167, vcc_lo, v161, v37
	v_mul_u32_u24_sdwa v67, v67, v45 dst_sel:DWORD dst_unused:UNUSED_PAD src0_sel:WORD_1 src1_sel:DWORD
	s_waitcnt lgkmcnt(1)
	v_pk_fma_f16 v88, v53, v80, v88
	v_pk_fma_f16 v75, v53, v66, v75
	;; [unrolled: 1-line block ×3, first 2 shown]
	v_mul_u32_u24_sdwa v187, v68, v45 dst_sel:DWORD dst_unused:UNUSED_PAD src0_sel:WORD_0 src1_sel:DWORD
	v_mul_u32_u24_sdwa v188, v68, v45 dst_sel:DWORD dst_unused:UNUSED_PAD src0_sel:WORD_1 src1_sel:DWORD
	v_mul_u32_u24_sdwa v189, v69, v45 dst_sel:DWORD dst_unused:UNUSED_PAD src0_sel:WORD_0 src1_sel:DWORD
	v_add_co_ci_u32_e64 v168, null, 0, v162, vcc_lo
	v_add_co_u32 v171, vcc_lo, v165, v37
	v_add_co_ci_u32_e64 v172, null, 0, v166, vcc_lo
	v_pk_fma_f16 v175, v53, v67, v62
	v_pk_fma_f16 v176, v54, v80, v78
	;; [unrolled: 1-line block ×13, first 2 shown]
	v_mul_u32_u24_sdwa v191, v69, v45 dst_sel:DWORD dst_unused:UNUSED_PAD src0_sel:WORD_1 src1_sel:DWORD
	s_waitcnt lgkmcnt(0)
	v_pk_fma_f16 v192, v58, v187, v88
	v_pk_fma_f16 v193, v58, v188, v75
	;; [unrolled: 1-line block ×3, first 2 shown]
	ds_read2_b64 v[53:56], v51 offset1:32
	ds_read2_b64 v[62:65], v51 offset0:64 offset1:96
	ds_read2_b64 v[66:69], v51 offset0:128 offset1:160
	ds_read_b128 v[74:77], v39 offset:640
	ds_read_b128 v[78:81], v39 offset:656
	ds_read2_b64 v[83:86], v51 offset0:192 offset1:224
	ds_read2_b64 v[87:90], v48 offset1:32
	ds_read2_b64 v[91:94], v48 offset0:64 offset1:96
	ds_read2_b64 v[95:98], v48 offset0:128 offset1:160
	ds_read_b128 v[99:102], v39 offset:672
	ds_read_b128 v[103:106], v39 offset:688
	ds_read2_b64 v[107:110], v48 offset0:192 offset1:224
	;; [unrolled: 6-line block ×4, first 2 shown]
	s_waitcnt lgkmcnt(0)
	s_barrier
	buffer_gl0_inv
	s_clause 0x3
	global_load_dwordx4 v[159:162], v[159:160], off
	global_load_dwordx4 v[163:166], v[163:164], off
	;; [unrolled: 1-line block ×4, first 2 shown]
	v_pk_fma_f16 v58, v58, v191, v175
	v_pk_fma_f16 v175, v59, v187, v176
	v_pk_fma_f16 v176, v59, v188, v177
	v_pk_fma_f16 v177, v59, v189, v178
	v_pk_fma_f16 v59, v59, v191, v179
	v_pk_fma_f16 v178, v60, v187, v180
	v_pk_fma_f16 v179, v60, v188, v181
	v_pk_fma_f16 v180, v60, v189, v182
	v_pk_fma_f16 v60, v60, v191, v183
	v_pk_fma_f16 v181, v61, v187, v184
	v_pk_fma_f16 v182, v61, v188, v185
	v_pk_fma_f16 v183, v61, v189, v186
	v_mul_u32_u24_sdwa v184, v74, v45 dst_sel:DWORD dst_unused:UNUSED_PAD src0_sel:WORD_0 src1_sel:DWORD
	v_mul_u32_u24_sdwa v74, v74, v45 dst_sel:DWORD dst_unused:UNUSED_PAD src0_sel:WORD_1 src1_sel:DWORD
	v_mul_u32_u24_sdwa v185, v75, v45 dst_sel:DWORD dst_unused:UNUSED_PAD src0_sel:WORD_0 src1_sel:DWORD
	v_mul_u32_u24_sdwa v75, v75, v45 dst_sel:DWORD dst_unused:UNUSED_PAD src0_sel:WORD_1 src1_sel:DWORD
	v_pk_fma_f16 v61, v61, v191, v190
	v_pk_fma_f16 v186, v53, v184, v192
	v_pk_fma_f16 v187, v53, v74, v193
	v_pk_fma_f16 v188, v53, v185, v194
	v_pk_fma_f16 v53, v53, v75, v58
	v_pk_fma_f16 v58, v54, v184, v175
	v_pk_fma_f16 v175, v54, v74, v176
	v_pk_fma_f16 v176, v54, v185, v177
	v_pk_fma_f16 v54, v54, v75, v59
	v_pk_fma_f16 v59, v55, v184, v178
	v_pk_fma_f16 v177, v55, v74, v179
	v_pk_fma_f16 v178, v55, v185, v180
	v_pk_fma_f16 v55, v55, v75, v60
	v_pk_fma_f16 v60, v56, v184, v181
	v_pk_fma_f16 v74, v56, v74, v182
	v_pk_fma_f16 v179, v56, v185, v183
	v_mul_u32_u24_sdwa v180, v76, v45 dst_sel:DWORD dst_unused:UNUSED_PAD src0_sel:WORD_0 src1_sel:DWORD
	v_mul_u32_u24_sdwa v76, v76, v45 dst_sel:DWORD dst_unused:UNUSED_PAD src0_sel:WORD_1 src1_sel:DWORD
	v_mul_u32_u24_sdwa v181, v77, v45 dst_sel:DWORD dst_unused:UNUSED_PAD src0_sel:WORD_0 src1_sel:DWORD
	v_mul_u32_u24_sdwa v77, v77, v45 dst_sel:DWORD dst_unused:UNUSED_PAD src0_sel:WORD_1 src1_sel:DWORD
	v_pk_fma_f16 v56, v56, v75, v61
	v_pk_fma_f16 v61, v62, v180, v186
	v_pk_fma_f16 v75, v62, v76, v187
	v_pk_fma_f16 v182, v62, v181, v188
	;; [unrolled: 20-line block ×4, first 2 shown]
	v_pk_fma_f16 v53, v83, v78, v53
	v_pk_fma_f16 v58, v84, v74, v58
	;; [unrolled: 1-line block ×12, first 2 shown]
	v_mul_u32_u24_sdwa v74, v99, v45 dst_sel:DWORD dst_unused:UNUSED_PAD src0_sel:WORD_0 src1_sel:DWORD
	v_mul_u32_u24_sdwa v75, v99, v45 dst_sel:DWORD dst_unused:UNUSED_PAD src0_sel:WORD_1 src1_sel:DWORD
	v_mul_u32_u24_sdwa v77, v100, v45 dst_sel:DWORD dst_unused:UNUSED_PAD src0_sel:WORD_1 src1_sel:DWORD
	v_pk_fma_f16 v56, v86, v78, v56
	v_mul_u32_u24_sdwa v78, v102, v45 dst_sel:DWORD dst_unused:UNUSED_PAD src0_sel:WORD_1 src1_sel:DWORD
	v_pk_fma_f16 v61, v87, v74, v61
	v_pk_fma_f16 v65, v87, v75, v65
	;; [unrolled: 1-line block ×11, first 2 shown]
	v_mul_u32_u24_sdwa v74, v101, v45 dst_sel:DWORD dst_unused:UNUSED_PAD src0_sel:WORD_0 src1_sel:DWORD
	v_mul_u32_u24_sdwa v75, v101, v45 dst_sel:DWORD dst_unused:UNUSED_PAD src0_sel:WORD_1 src1_sel:DWORD
	v_pk_fma_f16 v56, v90, v77, v56
	v_pk_fma_f16 v53, v91, v78, v53
	;; [unrolled: 1-line block ×12, first 2 shown]
	v_mul_u32_u24_sdwa v74, v103, v45 dst_sel:DWORD dst_unused:UNUSED_PAD src0_sel:WORD_0 src1_sel:DWORD
	v_mul_u32_u24_sdwa v75, v103, v45 dst_sel:DWORD dst_unused:UNUSED_PAD src0_sel:WORD_1 src1_sel:DWORD
	v_mul_u32_u24_sdwa v77, v104, v45 dst_sel:DWORD dst_unused:UNUSED_PAD src0_sel:WORD_1 src1_sel:DWORD
	v_mul_u32_u24_sdwa v76, v100, v45 dst_sel:DWORD dst_unused:UNUSED_PAD src0_sel:WORD_0 src1_sel:DWORD
	v_pk_fma_f16 v56, v94, v78, v56
	v_pk_fma_f16 v61, v95, v74, v61
	v_pk_fma_f16 v65, v95, v75, v65
	v_pk_fma_f16 v53, v95, v77, v53
	v_pk_fma_f16 v58, v96, v74, v58
	v_pk_fma_f16 v62, v96, v75, v62
	v_pk_fma_f16 v54, v96, v77, v54
	v_pk_fma_f16 v59, v97, v74, v59
	v_pk_fma_f16 v63, v97, v75, v63
	v_pk_fma_f16 v55, v97, v77, v55
	v_pk_fma_f16 v60, v98, v74, v60
	v_pk_fma_f16 v64, v98, v75, v64
	v_mul_u32_u24_sdwa v74, v105, v45 dst_sel:DWORD dst_unused:UNUSED_PAD src0_sel:WORD_0 src1_sel:DWORD
	v_mul_u32_u24_sdwa v75, v105, v45 dst_sel:DWORD dst_unused:UNUSED_PAD src0_sel:WORD_1 src1_sel:DWORD
	v_mul_u32_u24_sdwa v78, v106, v45 dst_sel:DWORD dst_unused:UNUSED_PAD src0_sel:WORD_1 src1_sel:DWORD
	v_pk_fma_f16 v69, v87, v76, v69
	v_pk_fma_f16 v66, v88, v76, v66
	v_pk_fma_f16 v67, v89, v76, v67
	v_pk_fma_f16 v68, v90, v76, v68
	v_mul_u32_u24_sdwa v76, v102, v45 dst_sel:DWORD dst_unused:UNUSED_PAD src0_sel:WORD_0 src1_sel:DWORD
	v_pk_fma_f16 v56, v98, v77, v56
	v_pk_fma_f16 v61, v107, v74, v61
	v_pk_fma_f16 v65, v107, v75, v65
	v_pk_fma_f16 v53, v107, v78, v53
	v_pk_fma_f16 v58, v108, v74, v58
	v_pk_fma_f16 v62, v108, v75, v62
	v_pk_fma_f16 v54, v108, v78, v54
	v_pk_fma_f16 v59, v109, v74, v59
	v_pk_fma_f16 v63, v109, v75, v63
	v_pk_fma_f16 v55, v109, v78, v55
	v_pk_fma_f16 v60, v110, v74, v60
	v_pk_fma_f16 v64, v110, v75, v64
	v_mul_u32_u24_sdwa v74, v123, v45 dst_sel:DWORD dst_unused:UNUSED_PAD src0_sel:WORD_0 src1_sel:DWORD
	v_mul_u32_u24_sdwa v75, v123, v45 dst_sel:DWORD dst_unused:UNUSED_PAD src0_sel:WORD_1 src1_sel:DWORD
	v_mul_u32_u24_sdwa v77, v124, v45 dst_sel:DWORD dst_unused:UNUSED_PAD src0_sel:WORD_1 src1_sel:DWORD
	v_pk_fma_f16 v69, v91, v76, v69
	v_pk_fma_f16 v66, v92, v76, v66
	v_pk_fma_f16 v67, v93, v76, v67
	v_pk_fma_f16 v68, v94, v76, v68
	;; [unrolled: 20-line block ×8, first 2 shown]
	v_mul_u32_u24_sdwa v76, v148, v45 dst_sel:DWORD dst_unused:UNUSED_PAD src0_sel:WORD_0 src1_sel:DWORD
	v_pk_fma_f16 v78, v142, v78, v56
	v_pk_fma_f16 v61, v143, v74, v61
	;; [unrolled: 1-line block ×9, first 2 shown]
	v_mul_u32_u24_sdwa v75, v153, v45 dst_sel:DWORD dst_unused:UNUSED_PAD src0_sel:WORD_0 src1_sel:DWORD
	s_waitcnt vmcnt(3)
	ds_write_b128 v40, v[159:162]
	s_waitcnt vmcnt(2)
	ds_write_b128 v41, v[163:166]
	;; [unrolled: 2-line block ×4, first 2 shown]
	s_waitcnt lgkmcnt(0)
	s_barrier
	buffer_gl0_inv
	ds_read_b128 v[53:56], v39 offset:768
	v_pk_fma_f16 v69, v135, v76, v69
	v_pk_fma_f16 v66, v136, v76, v66
	;; [unrolled: 1-line block ×4, first 2 shown]
	v_mul_u32_u24_sdwa v76, v150, v45 dst_sel:DWORD dst_unused:UNUSED_PAD src0_sel:WORD_0 src1_sel:DWORD
	v_pk_fma_f16 v80, v144, v74, v58
	v_pk_fma_f16 v83, v145, v74, v59
	v_pk_fma_f16 v74, v146, v74, v60
	v_pk_fma_f16 v77, v146, v77, v78
	v_pk_fma_f16 v78, v155, v75, v61
	ds_read2_b64 v[58:61], v57 offset1:32
	v_pk_fma_f16 v69, v139, v76, v69
	v_pk_fma_f16 v66, v140, v76, v66
	v_pk_fma_f16 v67, v141, v76, v67
	v_pk_fma_f16 v68, v142, v76, v68
	v_mul_u32_u24_sdwa v76, v152, v45 dst_sel:DWORD dst_unused:UNUSED_PAD src0_sel:WORD_0 src1_sel:DWORD
	v_mul_u32_u24_sdwa v85, v154, v45 dst_sel:DWORD dst_unused:UNUSED_PAD src0_sel:WORD_0 src1_sel:DWORD
	v_mul_u32_u24_sdwa v86, v154, v45 dst_sel:DWORD dst_unused:UNUSED_PAD src0_sel:WORD_1 src1_sel:DWORD
	v_pk_fma_f16 v90, v156, v75, v80
	v_pk_fma_f16 v83, v157, v75, v83
	;; [unrolled: 1-line block ×6, first 2 shown]
	v_mul_u32_u24_sdwa v76, v153, v45 dst_sel:DWORD dst_unused:UNUSED_PAD src0_sel:WORD_1 src1_sel:DWORD
	v_pk_fma_f16 v88, v155, v85, v69
	v_pk_fma_f16 v89, v155, v86, v79
	;; [unrolled: 1-line block ×8, first 2 shown]
	ds_read_b128 v[62:65], v39 offset:784
	s_waitcnt lgkmcnt(2)
	v_mul_u32_u24_sdwa v98, v53, v45 dst_sel:DWORD dst_unused:UNUSED_PAD src0_sel:WORD_0 src1_sel:DWORD
	v_pk_fma_f16 v95, v157, v85, v67
	v_pk_fma_f16 v84, v157, v86, v84
	;; [unrolled: 1-line block ×5, first 2 shown]
	ds_read_b128 v[66:69], v39 offset:800
	ds_read_b128 v[74:77], v39 offset:816
	v_mul_u32_u24_sdwa v53, v53, v45 dst_sel:DWORD dst_unused:UNUSED_PAD src0_sel:WORD_1 src1_sel:DWORD
	v_mul_u32_u24_sdwa v99, v54, v45 dst_sel:DWORD dst_unused:UNUSED_PAD src0_sel:WORD_0 src1_sel:DWORD
	v_mul_u32_u24_sdwa v54, v54, v45 dst_sel:DWORD dst_unused:UNUSED_PAD src0_sel:WORD_1 src1_sel:DWORD
	s_waitcnt lgkmcnt(3)
	v_pk_fma_f16 v100, v58, v98, v78
	ds_read2_b64 v[78:81], v57 offset0:64 offset1:96
	v_pk_fma_f16 v87, v58, v53, v87
	v_pk_fma_f16 v88, v58, v99, v88
	v_pk_fma_f16 v58, v58, v54, v89
	v_pk_fma_f16 v89, v59, v98, v90
	v_pk_fma_f16 v90, v59, v53, v91
	v_pk_fma_f16 v91, v59, v99, v92
	v_pk_fma_f16 v59, v59, v54, v93
	v_pk_fma_f16 v83, v60, v98, v83
	v_pk_fma_f16 v92, v60, v53, v94
	v_pk_fma_f16 v93, v60, v99, v95
	v_pk_fma_f16 v60, v60, v54, v84
	v_pk_fma_f16 v84, v61, v98, v96
	v_pk_fma_f16 v94, v61, v53, v97
	v_pk_fma_f16 v85, v61, v99, v85
	v_mul_u32_u24_sdwa v95, v55, v45 dst_sel:DWORD dst_unused:UNUSED_PAD src0_sel:WORD_0 src1_sel:DWORD
	v_pk_fma_f16 v61, v61, v54, v86
	v_mul_u32_u24_sdwa v86, v55, v45 dst_sel:DWORD dst_unused:UNUSED_PAD src0_sel:WORD_1 src1_sel:DWORD
	v_mul_u32_u24_sdwa v96, v56, v45 dst_sel:DWORD dst_unused:UNUSED_PAD src0_sel:WORD_0 src1_sel:DWORD
	v_mul_u32_u24_sdwa v97, v56, v45 dst_sel:DWORD dst_unused:UNUSED_PAD src0_sel:WORD_1 src1_sel:DWORD
	ds_read2_b64 v[53:56], v57 offset0:128 offset1:160
	s_waitcnt lgkmcnt(1)
	v_pk_fma_f16 v98, v78, v95, v100
	v_pk_fma_f16 v87, v78, v86, v87
	;; [unrolled: 1-line block ×15, first 2 shown]
	v_mul_u32_u24_sdwa v94, v62, v45 dst_sel:DWORD dst_unused:UNUSED_PAD src0_sel:WORD_0 src1_sel:DWORD
	v_pk_fma_f16 v61, v81, v97, v61
	v_mul_u32_u24_sdwa v62, v62, v45 dst_sel:DWORD dst_unused:UNUSED_PAD src0_sel:WORD_1 src1_sel:DWORD
	v_mul_u32_u24_sdwa v81, v63, v45 dst_sel:DWORD dst_unused:UNUSED_PAD src0_sel:WORD_0 src1_sel:DWORD
	v_mul_u32_u24_sdwa v63, v63, v45 dst_sel:DWORD dst_unused:UNUSED_PAD src0_sel:WORD_1 src1_sel:DWORD
	ds_read2_b64 v[57:60], v57 offset0:192 offset1:224
	s_waitcnt lgkmcnt(1)
	v_pk_fma_f16 v95, v53, v94, v98
	v_pk_fma_f16 v87, v53, v62, v87
	;; [unrolled: 1-line block ×16, first 2 shown]
	ds_read2_b64 v[53:56], v52 offset1:32
	v_mul_u32_u24_sdwa v85, v64, v45 dst_sel:DWORD dst_unused:UNUSED_PAD src0_sel:WORD_0 src1_sel:DWORD
	v_mul_u32_u24_sdwa v63, v64, v45 dst_sel:DWORD dst_unused:UNUSED_PAD src0_sel:WORD_1 src1_sel:DWORD
	v_mul_u32_u24_sdwa v64, v65, v45 dst_sel:DWORD dst_unused:UNUSED_PAD src0_sel:WORD_0 src1_sel:DWORD
	v_mul_u32_u24_sdwa v65, v65, v45 dst_sel:DWORD dst_unused:UNUSED_PAD src0_sel:WORD_1 src1_sel:DWORD
	s_waitcnt lgkmcnt(1)
	v_pk_fma_f16 v86, v57, v85, v95
	v_pk_fma_f16 v87, v57, v63, v87
	;; [unrolled: 1-line block ×15, first 2 shown]
	v_mul_u32_u24_sdwa v64, v66, v45 dst_sel:DWORD dst_unused:UNUSED_PAD src0_sel:WORD_0 src1_sel:DWORD
	v_pk_fma_f16 v61, v60, v65, v61
	v_mul_u32_u24_sdwa v65, v66, v45 dst_sel:DWORD dst_unused:UNUSED_PAD src0_sel:WORD_1 src1_sel:DWORD
	v_mul_u32_u24_sdwa v66, v67, v45 dst_sel:DWORD dst_unused:UNUSED_PAD src0_sel:WORD_0 src1_sel:DWORD
	v_mul_u32_u24_sdwa v67, v67, v45 dst_sel:DWORD dst_unused:UNUSED_PAD src0_sel:WORD_1 src1_sel:DWORD
	ds_read2_b64 v[57:60], v52 offset0:64 offset1:96
	s_waitcnt lgkmcnt(1)
	v_pk_fma_f16 v81, v53, v64, v86
	v_pk_fma_f16 v85, v53, v65, v87
	;; [unrolled: 1-line block ×16, first 2 shown]
	ds_read2_b64 v[53:56], v52 offset0:128 offset1:160
	v_mul_u32_u24_sdwa v65, v68, v45 dst_sel:DWORD dst_unused:UNUSED_PAD src0_sel:WORD_0 src1_sel:DWORD
	v_mul_u32_u24_sdwa v66, v68, v45 dst_sel:DWORD dst_unused:UNUSED_PAD src0_sel:WORD_1 src1_sel:DWORD
	v_mul_u32_u24_sdwa v67, v69, v45 dst_sel:DWORD dst_unused:UNUSED_PAD src0_sel:WORD_0 src1_sel:DWORD
	v_mul_u32_u24_sdwa v68, v69, v45 dst_sel:DWORD dst_unused:UNUSED_PAD src0_sel:WORD_1 src1_sel:DWORD
	s_waitcnt lgkmcnt(1)
	v_pk_fma_f16 v69, v57, v65, v81
	v_pk_fma_f16 v81, v57, v66, v85
	;; [unrolled: 1-line block ×15, first 2 shown]
	v_mul_u32_u24_sdwa v65, v74, v45 dst_sel:DWORD dst_unused:UNUSED_PAD src0_sel:WORD_0 src1_sel:DWORD
	v_mul_u32_u24_sdwa v66, v74, v45 dst_sel:DWORD dst_unused:UNUSED_PAD src0_sel:WORD_1 src1_sel:DWORD
	v_pk_fma_f16 v61, v60, v68, v61
	v_mul_u32_u24_sdwa v67, v75, v45 dst_sel:DWORD dst_unused:UNUSED_PAD src0_sel:WORD_0 src1_sel:DWORD
	v_mul_u32_u24_sdwa v68, v75, v45 dst_sel:DWORD dst_unused:UNUSED_PAD src0_sel:WORD_1 src1_sel:DWORD
	s_waitcnt lgkmcnt(0)
	v_pk_fma_f16 v69, v53, v65, v69
	v_pk_fma_f16 v74, v53, v66, v81
	ds_read2_b64 v[57:60], v52 offset0:192 offset1:224
	v_pk_fma_f16 v75, v53, v67, v84
	v_pk_fma_f16 v78, v53, v68, v78
	;; [unrolled: 1-line block ×10, first 2 shown]
	ds_read_b128 v[52:55], v39 offset:832
	v_pk_fma_f16 v65, v56, v65, v64
	v_pk_fma_f16 v66, v56, v66, v62
	;; [unrolled: 1-line block ×4, first 2 shown]
	ds_read2_b64 v[61:64], v49 offset1:32
	v_mul_u32_u24_sdwa v56, v76, v45 dst_sel:DWORD dst_unused:UNUSED_PAD src0_sel:WORD_0 src1_sel:DWORD
	v_mul_u32_u24_sdwa v76, v76, v45 dst_sel:DWORD dst_unused:UNUSED_PAD src0_sel:WORD_1 src1_sel:DWORD
	v_mul_u32_u24_sdwa v88, v77, v45 dst_sel:DWORD dst_unused:UNUSED_PAD src0_sel:WORD_0 src1_sel:DWORD
	v_mul_u32_u24_sdwa v77, v77, v45 dst_sel:DWORD dst_unused:UNUSED_PAD src0_sel:WORD_1 src1_sel:DWORD
	s_waitcnt lgkmcnt(2)
	v_pk_fma_f16 v69, v57, v56, v69
	v_pk_fma_f16 v74, v57, v76, v74
	;; [unrolled: 1-line block ×15, first 2 shown]
	ds_read_b128 v[56:59], v39 offset:848
	s_waitcnt lgkmcnt(2)
	v_mul_u32_u24_sdwa v90, v52, v45 dst_sel:DWORD dst_unused:UNUSED_PAD src0_sel:WORD_0 src1_sel:DWORD
	v_pk_fma_f16 v60, v60, v77, v68
	v_mul_u32_u24_sdwa v52, v52, v45 dst_sel:DWORD dst_unused:UNUSED_PAD src0_sel:WORD_1 src1_sel:DWORD
	v_mul_u32_u24_sdwa v77, v53, v45 dst_sel:DWORD dst_unused:UNUSED_PAD src0_sel:WORD_0 src1_sel:DWORD
	v_mul_u32_u24_sdwa v53, v53, v45 dst_sel:DWORD dst_unused:UNUSED_PAD src0_sel:WORD_1 src1_sel:DWORD
	ds_read2_b64 v[65:68], v49 offset0:64 offset1:96
	s_waitcnt lgkmcnt(2)
	v_pk_fma_f16 v69, v61, v90, v69
	v_pk_fma_f16 v74, v61, v52, v74
	;; [unrolled: 1-line block ×15, first 2 shown]
	v_mul_u32_u24_sdwa v86, v54, v45 dst_sel:DWORD dst_unused:UNUSED_PAD src0_sel:WORD_0 src1_sel:DWORD
	v_pk_fma_f16 v60, v64, v53, v60
	v_mul_u32_u24_sdwa v64, v54, v45 dst_sel:DWORD dst_unused:UNUSED_PAD src0_sel:WORD_1 src1_sel:DWORD
	v_mul_u32_u24_sdwa v87, v55, v45 dst_sel:DWORD dst_unused:UNUSED_PAD src0_sel:WORD_0 src1_sel:DWORD
	v_mul_u32_u24_sdwa v88, v55, v45 dst_sel:DWORD dst_unused:UNUSED_PAD src0_sel:WORD_1 src1_sel:DWORD
	ds_read2_b64 v[52:55], v49 offset0:128 offset1:160
	s_waitcnt lgkmcnt(1)
	v_pk_fma_f16 v69, v65, v86, v69
	v_pk_fma_f16 v74, v65, v64, v74
	;; [unrolled: 1-line block ×15, first 2 shown]
	v_mul_u32_u24_sdwa v77, v56, v45 dst_sel:DWORD dst_unused:UNUSED_PAD src0_sel:WORD_0 src1_sel:DWORD
	v_mul_u32_u24_sdwa v56, v56, v45 dst_sel:DWORD dst_unused:UNUSED_PAD src0_sel:WORD_1 src1_sel:DWORD
	v_pk_fma_f16 v68, v68, v88, v60
	v_mul_u32_u24_sdwa v86, v57, v45 dst_sel:DWORD dst_unused:UNUSED_PAD src0_sel:WORD_0 src1_sel:DWORD
	v_mul_u32_u24_sdwa v57, v57, v45 dst_sel:DWORD dst_unused:UNUSED_PAD src0_sel:WORD_1 src1_sel:DWORD
	s_waitcnt lgkmcnt(0)
	v_pk_fma_f16 v69, v52, v77, v69
	v_pk_fma_f16 v74, v52, v56, v74
	ds_read2_b64 v[60:63], v49 offset0:192 offset1:224
	v_pk_fma_f16 v49, v52, v86, v75
	v_pk_fma_f16 v65, v52, v57, v65
	;; [unrolled: 1-line block ×14, first 2 shown]
	ds_read_b128 v[52:55], v39 offset:864
	v_mul_u32_u24_sdwa v80, v58, v45 dst_sel:DWORD dst_unused:UNUSED_PAD src0_sel:WORD_0 src1_sel:DWORD
	v_mul_u32_u24_sdwa v85, v58, v45 dst_sel:DWORD dst_unused:UNUSED_PAD src0_sel:WORD_1 src1_sel:DWORD
	v_mul_u32_u24_sdwa v86, v59, v45 dst_sel:DWORD dst_unused:UNUSED_PAD src0_sel:WORD_0 src1_sel:DWORD
	v_mul_u32_u24_sdwa v87, v59, v45 dst_sel:DWORD dst_unused:UNUSED_PAD src0_sel:WORD_1 src1_sel:DWORD
	ds_read2_b64 v[56:59], v50 offset1:32
	s_waitcnt lgkmcnt(2)
	v_pk_fma_f16 v69, v60, v80, v69
	v_pk_fma_f16 v74, v60, v85, v74
	;; [unrolled: 1-line block ×15, first 2 shown]
	ds_read_b128 v[64:67], v39 offset:880
	s_waitcnt lgkmcnt(2)
	v_mul_u32_u24_sdwa v85, v52, v45 dst_sel:DWORD dst_unused:UNUSED_PAD src0_sel:WORD_0 src1_sel:DWORD
	v_pk_fma_f16 v68, v63, v87, v68
	v_mul_u32_u24_sdwa v52, v52, v45 dst_sel:DWORD dst_unused:UNUSED_PAD src0_sel:WORD_1 src1_sel:DWORD
	v_mul_u32_u24_sdwa v86, v53, v45 dst_sel:DWORD dst_unused:UNUSED_PAD src0_sel:WORD_0 src1_sel:DWORD
	v_mul_u32_u24_sdwa v53, v53, v45 dst_sel:DWORD dst_unused:UNUSED_PAD src0_sel:WORD_1 src1_sel:DWORD
	ds_read2_b64 v[60:63], v50 offset0:64 offset1:96
	s_waitcnt lgkmcnt(2)
	v_pk_fma_f16 v69, v56, v85, v69
	v_pk_fma_f16 v74, v56, v52, v74
	;; [unrolled: 1-line block ×15, first 2 shown]
	v_mul_u32_u24_sdwa v85, v54, v45 dst_sel:DWORD dst_unused:UNUSED_PAD src0_sel:WORD_0 src1_sel:DWORD
	v_pk_fma_f16 v59, v59, v53, v68
	v_mul_u32_u24_sdwa v68, v54, v45 dst_sel:DWORD dst_unused:UNUSED_PAD src0_sel:WORD_1 src1_sel:DWORD
	v_mul_u32_u24_sdwa v86, v55, v45 dst_sel:DWORD dst_unused:UNUSED_PAD src0_sel:WORD_0 src1_sel:DWORD
	v_mul_u32_u24_sdwa v87, v55, v45 dst_sel:DWORD dst_unused:UNUSED_PAD src0_sel:WORD_1 src1_sel:DWORD
	ds_read2_b64 v[52:55], v50 offset0:128 offset1:160
	s_waitcnt lgkmcnt(1)
	v_pk_fma_f16 v69, v60, v85, v69
	v_pk_fma_f16 v74, v60, v68, v74
	;; [unrolled: 1-line block ×15, first 2 shown]
	v_mul_u32_u24_sdwa v80, v64, v45 dst_sel:DWORD dst_unused:UNUSED_PAD src0_sel:WORD_0 src1_sel:DWORD
	v_mul_u32_u24_sdwa v64, v64, v45 dst_sel:DWORD dst_unused:UNUSED_PAD src0_sel:WORD_1 src1_sel:DWORD
	v_pk_fma_f16 v63, v63, v87, v59
	v_mul_u32_u24_sdwa v85, v65, v45 dst_sel:DWORD dst_unused:UNUSED_PAD src0_sel:WORD_0 src1_sel:DWORD
	v_mul_u32_u24_sdwa v65, v65, v45 dst_sel:DWORD dst_unused:UNUSED_PAD src0_sel:WORD_1 src1_sel:DWORD
	s_waitcnt lgkmcnt(0)
	v_pk_fma_f16 v69, v52, v80, v69
	v_pk_fma_f16 v74, v52, v64, v74
	ds_read2_b64 v[56:59], v50 offset0:192 offset1:224
	v_pk_fma_f16 v49, v52, v85, v49
	v_pk_fma_f16 v50, v52, v65, v60
	v_pk_fma_f16 v75, v53, v80, v75
	v_pk_fma_f16 v78, v53, v64, v78
	v_pk_fma_f16 v81, v53, v85, v81
	v_pk_fma_f16 v86, v53, v65, v61
	v_pk_fma_f16 v79, v54, v80, v79
	v_pk_fma_f16 v83, v54, v64, v83
	v_pk_fma_f16 v84, v54, v85, v84
	v_pk_fma_f16 v87, v54, v65, v62
	v_pk_fma_f16 v77, v55, v80, v77
	v_pk_fma_f16 v64, v55, v64, v68
	v_pk_fma_f16 v68, v55, v85, v76
	v_pk_fma_f16 v76, v55, v65, v63
	ds_read_b128 v[52:55], v39 offset:896
	ds_read2_b64 v[60:63], v51 offset1:32
	v_mul_u32_u24_sdwa v65, v66, v45 dst_sel:DWORD dst_unused:UNUSED_PAD src0_sel:WORD_0 src1_sel:DWORD
	v_mul_u32_u24_sdwa v66, v66, v45 dst_sel:DWORD dst_unused:UNUSED_PAD src0_sel:WORD_1 src1_sel:DWORD
	v_mul_u32_u24_sdwa v80, v67, v45 dst_sel:DWORD dst_unused:UNUSED_PAD src0_sel:WORD_0 src1_sel:DWORD
	v_mul_u32_u24_sdwa v85, v67, v45 dst_sel:DWORD dst_unused:UNUSED_PAD src0_sel:WORD_1 src1_sel:DWORD
	s_waitcnt lgkmcnt(2)
	v_pk_fma_f16 v69, v56, v65, v69
	v_pk_fma_f16 v74, v56, v66, v74
	;; [unrolled: 1-line block ×15, first 2 shown]
	ds_read_b128 v[64:67], v39 offset:912
	s_waitcnt lgkmcnt(2)
	v_mul_u32_u24_sdwa v80, v52, v45 dst_sel:DWORD dst_unused:UNUSED_PAD src0_sel:WORD_0 src1_sel:DWORD
	v_pk_fma_f16 v76, v59, v85, v76
	v_mul_u32_u24_sdwa v52, v52, v45 dst_sel:DWORD dst_unused:UNUSED_PAD src0_sel:WORD_1 src1_sel:DWORD
	v_mul_u32_u24_sdwa v85, v53, v45 dst_sel:DWORD dst_unused:UNUSED_PAD src0_sel:WORD_0 src1_sel:DWORD
	v_mul_u32_u24_sdwa v53, v53, v45 dst_sel:DWORD dst_unused:UNUSED_PAD src0_sel:WORD_1 src1_sel:DWORD
	ds_read2_b64 v[56:59], v51 offset0:64 offset1:96
	s_waitcnt lgkmcnt(2)
	v_pk_fma_f16 v69, v60, v80, v69
	v_pk_fma_f16 v74, v60, v52, v74
	;; [unrolled: 1-line block ×15, first 2 shown]
	v_mul_u32_u24_sdwa v84, v54, v45 dst_sel:DWORD dst_unused:UNUSED_PAD src0_sel:WORD_0 src1_sel:DWORD
	v_pk_fma_f16 v63, v63, v53, v76
	v_mul_u32_u24_sdwa v76, v54, v45 dst_sel:DWORD dst_unused:UNUSED_PAD src0_sel:WORD_1 src1_sel:DWORD
	v_mul_u32_u24_sdwa v85, v55, v45 dst_sel:DWORD dst_unused:UNUSED_PAD src0_sel:WORD_0 src1_sel:DWORD
	v_mul_u32_u24_sdwa v86, v55, v45 dst_sel:DWORD dst_unused:UNUSED_PAD src0_sel:WORD_1 src1_sel:DWORD
	ds_read2_b64 v[52:55], v51 offset0:128 offset1:160
	s_waitcnt lgkmcnt(1)
	v_pk_fma_f16 v69, v56, v84, v69
	v_pk_fma_f16 v74, v56, v76, v74
	;; [unrolled: 1-line block ×10, first 2 shown]
	v_mul_u32_u24_sdwa v80, v64, v45 dst_sel:DWORD dst_unused:UNUSED_PAD src0_sel:WORD_0 src1_sel:DWORD
	v_mul_u32_u24_sdwa v64, v64, v45 dst_sel:DWORD dst_unused:UNUSED_PAD src0_sel:WORD_1 src1_sel:DWORD
	v_mul_u32_u24_sdwa v84, v65, v45 dst_sel:DWORD dst_unused:UNUSED_PAD src0_sel:WORD_0 src1_sel:DWORD
	v_mul_u32_u24_sdwa v65, v65, v45 dst_sel:DWORD dst_unused:UNUSED_PAD src0_sel:WORD_1 src1_sel:DWORD
	v_pk_fma_f16 v78, v57, v85, v78
	v_pk_fma_f16 v61, v57, v86, v61
	;; [unrolled: 1-line block ×6, first 2 shown]
	s_waitcnt lgkmcnt(0)
	v_pk_fma_f16 v69, v52, v80, v69
	v_pk_fma_f16 v74, v52, v64, v74
	ds_read2_b64 v[56:59], v51 offset0:192 offset1:224
	v_pk_fma_f16 v85, v52, v84, v49
	v_pk_fma_f16 v86, v52, v65, v50
	ds_read_b128 v[49:52], v39 offset:928
	v_pk_fma_f16 v87, v53, v80, v60
	v_pk_fma_f16 v75, v53, v64, v75
	;; [unrolled: 1-line block ×9, first 2 shown]
	ds_read2_b64 v[60:63], v48 offset1:32
	v_pk_fma_f16 v77, v55, v80, v77
	v_pk_fma_f16 v64, v55, v64, v76
	v_pk_fma_f16 v68, v55, v84, v68
	v_mul_u32_u24_sdwa v55, v66, v45 dst_sel:DWORD dst_unused:UNUSED_PAD src0_sel:WORD_0 src1_sel:DWORD
	v_mul_u32_u24_sdwa v66, v66, v45 dst_sel:DWORD dst_unused:UNUSED_PAD src0_sel:WORD_1 src1_sel:DWORD
	v_mul_u32_u24_sdwa v76, v67, v45 dst_sel:DWORD dst_unused:UNUSED_PAD src0_sel:WORD_0 src1_sel:DWORD
	v_mul_u32_u24_sdwa v67, v67, v45 dst_sel:DWORD dst_unused:UNUSED_PAD src0_sel:WORD_1 src1_sel:DWORD
	s_waitcnt lgkmcnt(2)
	v_pk_fma_f16 v69, v56, v55, v69
	v_pk_fma_f16 v74, v56, v66, v74
	;; [unrolled: 1-line block ×15, first 2 shown]
	ds_read_b128 v[53:56], v39 offset:944
	s_waitcnt lgkmcnt(2)
	v_mul_u32_u24_sdwa v76, v49, v45 dst_sel:DWORD dst_unused:UNUSED_PAD src0_sel:WORD_0 src1_sel:DWORD
	v_pk_fma_f16 v59, v59, v67, v65
	v_mul_u32_u24_sdwa v49, v49, v45 dst_sel:DWORD dst_unused:UNUSED_PAD src0_sel:WORD_1 src1_sel:DWORD
	v_mul_u32_u24_sdwa v87, v50, v45 dst_sel:DWORD dst_unused:UNUSED_PAD src0_sel:WORD_0 src1_sel:DWORD
	v_mul_u32_u24_sdwa v50, v50, v45 dst_sel:DWORD dst_unused:UNUSED_PAD src0_sel:WORD_1 src1_sel:DWORD
	ds_read2_b64 v[64:67], v48 offset0:64 offset1:96
	s_waitcnt lgkmcnt(2)
	v_pk_fma_f16 v69, v60, v76, v69
	v_pk_fma_f16 v74, v60, v49, v74
	;; [unrolled: 1-line block ×15, first 2 shown]
	v_mul_u32_u24_sdwa v77, v51, v45 dst_sel:DWORD dst_unused:UNUSED_PAD src0_sel:WORD_0 src1_sel:DWORD
	v_pk_fma_f16 v59, v63, v50, v59
	v_mul_u32_u24_sdwa v63, v51, v45 dst_sel:DWORD dst_unused:UNUSED_PAD src0_sel:WORD_1 src1_sel:DWORD
	v_mul_u32_u24_sdwa v83, v52, v45 dst_sel:DWORD dst_unused:UNUSED_PAD src0_sel:WORD_0 src1_sel:DWORD
	v_mul_u32_u24_sdwa v85, v52, v45 dst_sel:DWORD dst_unused:UNUSED_PAD src0_sel:WORD_1 src1_sel:DWORD
	ds_read2_b64 v[49:52], v48 offset0:128 offset1:160
	s_waitcnt lgkmcnt(1)
	v_pk_fma_f16 v69, v64, v77, v69
	v_pk_fma_f16 v74, v64, v63, v74
	v_pk_fma_f16 v80, v64, v83, v80
	v_pk_fma_f16 v64, v64, v85, v60
	v_pk_fma_f16 v84, v65, v77, v84
	v_pk_fma_f16 v75, v65, v63, v75
	v_pk_fma_f16 v78, v65, v83, v78
	v_pk_fma_f16 v65, v65, v85, v57
	v_pk_fma_f16 v61, v66, v77, v61
	v_pk_fma_f16 v79, v66, v63, v79
	v_pk_fma_f16 v81, v66, v83, v81
	v_pk_fma_f16 v66, v66, v85, v58
	v_pk_fma_f16 v62, v67, v77, v62
	v_pk_fma_f16 v63, v67, v63, v76
	v_pk_fma_f16 v68, v67, v83, v68
	v_mul_u32_u24_sdwa v76, v53, v45 dst_sel:DWORD dst_unused:UNUSED_PAD src0_sel:WORD_0 src1_sel:DWORD
	v_mul_u32_u24_sdwa v53, v53, v45 dst_sel:DWORD dst_unused:UNUSED_PAD src0_sel:WORD_1 src1_sel:DWORD
	v_pk_fma_f16 v67, v67, v85, v59
	v_mul_u32_u24_sdwa v77, v54, v45 dst_sel:DWORD dst_unused:UNUSED_PAD src0_sel:WORD_0 src1_sel:DWORD
	v_mul_u32_u24_sdwa v54, v54, v45 dst_sel:DWORD dst_unused:UNUSED_PAD src0_sel:WORD_1 src1_sel:DWORD
	ds_read2_b64 v[57:60], v48 offset0:192 offset1:224
	s_waitcnt lgkmcnt(1)
	v_pk_fma_f16 v69, v49, v76, v69
	v_pk_fma_f16 v74, v49, v53, v74
	;; [unrolled: 1-line block ×12, first 2 shown]
	ds_read_b128 v[48:51], v39 offset:960
	v_pk_fma_f16 v62, v52, v76, v62
	v_pk_fma_f16 v63, v52, v53, v63
	v_pk_fma_f16 v68, v52, v77, v68
	v_pk_fma_f16 v67, v52, v54, v67
	v_mul_u32_u24_sdwa v76, v55, v45 dst_sel:DWORD dst_unused:UNUSED_PAD src0_sel:WORD_0 src1_sel:DWORD
	v_mul_u32_u24_sdwa v77, v55, v45 dst_sel:DWORD dst_unused:UNUSED_PAD src0_sel:WORD_1 src1_sel:DWORD
	ds_read2_b64 v[52:55], v47 offset1:32
	v_mul_u32_u24_sdwa v84, v56, v45 dst_sel:DWORD dst_unused:UNUSED_PAD src0_sel:WORD_0 src1_sel:DWORD
	v_mul_u32_u24_sdwa v85, v56, v45 dst_sel:DWORD dst_unused:UNUSED_PAD src0_sel:WORD_1 src1_sel:DWORD
	s_waitcnt lgkmcnt(2)
	v_pk_fma_f16 v69, v57, v76, v69
	v_pk_fma_f16 v74, v57, v77, v74
	v_pk_fma_f16 v83, v58, v76, v83
	v_pk_fma_f16 v75, v58, v77, v75
	v_pk_fma_f16 v86, v59, v76, v61
	v_pk_fma_f16 v79, v59, v77, v79
	v_pk_fma_f16 v76, v60, v76, v62
	v_pk_fma_f16 v77, v60, v77, v63
	v_pk_fma_f16 v68, v60, v84, v68
	v_pk_fma_f16 v67, v60, v85, v67
	ds_read2_b64 v[60:63], v47 offset0:64 offset1:96
	v_pk_fma_f16 v80, v57, v84, v80
	v_pk_fma_f16 v64, v57, v85, v64
	;; [unrolled: 1-line block ×6, first 2 shown]
	ds_read_b128 v[56:59], v39 offset:976
	s_waitcnt lgkmcnt(3)
	v_mul_u32_u24_sdwa v84, v48, v45 dst_sel:DWORD dst_unused:UNUSED_PAD src0_sel:WORD_0 src1_sel:DWORD
	v_mul_u32_u24_sdwa v48, v48, v45 dst_sel:DWORD dst_unused:UNUSED_PAD src0_sel:WORD_1 src1_sel:DWORD
	v_mul_u32_u24_sdwa v85, v49, v45 dst_sel:DWORD dst_unused:UNUSED_PAD src0_sel:WORD_0 src1_sel:DWORD
	v_mul_u32_u24_sdwa v49, v49, v45 dst_sel:DWORD dst_unused:UNUSED_PAD src0_sel:WORD_1 src1_sel:DWORD
	s_waitcnt lgkmcnt(2)
	v_pk_fma_f16 v69, v52, v84, v69
	v_pk_fma_f16 v74, v52, v48, v74
	;; [unrolled: 1-line block ×15, first 2 shown]
	v_mul_u32_u24_sdwa v77, v50, v45 dst_sel:DWORD dst_unused:UNUSED_PAD src0_sel:WORD_0 src1_sel:DWORD
	v_pk_fma_f16 v55, v55, v49, v67
	v_mul_u32_u24_sdwa v67, v50, v45 dst_sel:DWORD dst_unused:UNUSED_PAD src0_sel:WORD_1 src1_sel:DWORD
	v_mul_u32_u24_sdwa v83, v51, v45 dst_sel:DWORD dst_unused:UNUSED_PAD src0_sel:WORD_0 src1_sel:DWORD
	v_mul_u32_u24_sdwa v84, v51, v45 dst_sel:DWORD dst_unused:UNUSED_PAD src0_sel:WORD_1 src1_sel:DWORD
	ds_read2_b64 v[48:51], v47 offset0:128 offset1:160
	s_waitcnt lgkmcnt(2)
	v_pk_fma_f16 v69, v60, v77, v69
	v_pk_fma_f16 v74, v60, v67, v74
	;; [unrolled: 1-line block ×16, first 2 shown]
	ds_read2_b64 v[52:55], v47 offset0:192 offset1:224
	s_waitcnt lgkmcnt(2)
	v_mul_u32_u24_sdwa v76, v56, v45 dst_sel:DWORD dst_unused:UNUSED_PAD src0_sel:WORD_0 src1_sel:DWORD
	v_mul_u32_u24_sdwa v56, v56, v45 dst_sel:DWORD dst_unused:UNUSED_PAD src0_sel:WORD_1 src1_sel:DWORD
	v_mul_u32_u24_sdwa v77, v57, v45 dst_sel:DWORD dst_unused:UNUSED_PAD src0_sel:WORD_0 src1_sel:DWORD
	v_mul_u32_u24_sdwa v57, v57, v45 dst_sel:DWORD dst_unused:UNUSED_PAD src0_sel:WORD_1 src1_sel:DWORD
	v_mul_u32_u24_sdwa v83, v59, v45 dst_sel:DWORD dst_unused:UNUSED_PAD src0_sel:WORD_1 src1_sel:DWORD
	s_waitcnt lgkmcnt(1)
	v_pk_fma_f16 v69, v48, v76, v69
	v_pk_fma_f16 v74, v48, v56, v74
	;; [unrolled: 1-line block ×12, first 2 shown]
	ds_read_b128 v[47:50], v39 offset:992
	v_pk_fma_f16 v66, v51, v76, v66
	v_pk_fma_f16 v67, v51, v56, v67
	v_pk_fma_f16 v68, v51, v77, v68
	v_pk_fma_f16 v63, v51, v57, v63
	v_mul_u32_u24_sdwa v51, v58, v45 dst_sel:DWORD dst_unused:UNUSED_PAD src0_sel:WORD_0 src1_sel:DWORD
	v_mul_u32_u24_sdwa v76, v58, v45 dst_sel:DWORD dst_unused:UNUSED_PAD src0_sel:WORD_1 src1_sel:DWORD
	v_mul_u32_u24_sdwa v77, v59, v45 dst_sel:DWORD dst_unused:UNUSED_PAD src0_sel:WORD_0 src1_sel:DWORD
	ds_read2_b64 v[56:59], v46 offset1:32
	s_waitcnt lgkmcnt(2)
	v_pk_fma_f16 v84, v52, v83, v60
	v_pk_fma_f16 v85, v53, v83, v61
	;; [unrolled: 1-line block ×7, first 2 shown]
	ds_read2_b64 v[60:63], v46 offset0:64 offset1:96
	v_pk_fma_f16 v69, v52, v51, v69
	v_pk_fma_f16 v74, v52, v76, v74
	;; [unrolled: 1-line block ×9, first 2 shown]
	ds_read_b128 v[51:54], v39 offset:1008
	s_waitcnt lgkmcnt(3)
	v_mul_u32_u24_sdwa v76, v47, v45 dst_sel:DWORD dst_unused:UNUSED_PAD src0_sel:WORD_0 src1_sel:DWORD
	v_mul_u32_u24_sdwa v47, v47, v45 dst_sel:DWORD dst_unused:UNUSED_PAD src0_sel:WORD_1 src1_sel:DWORD
	v_mul_u32_u24_sdwa v77, v48, v45 dst_sel:DWORD dst_unused:UNUSED_PAD src0_sel:WORD_0 src1_sel:DWORD
	v_mul_u32_u24_sdwa v48, v48, v45 dst_sel:DWORD dst_unused:UNUSED_PAD src0_sel:WORD_1 src1_sel:DWORD
	v_mul_u32_u24_sdwa v83, v50, v45 dst_sel:DWORD dst_unused:UNUSED_PAD src0_sel:WORD_1 src1_sel:DWORD
	s_waitcnt lgkmcnt(2)
	v_pk_fma_f16 v69, v56, v76, v69
	v_pk_fma_f16 v74, v56, v47, v74
	;; [unrolled: 1-line block ×15, first 2 shown]
	v_mul_u32_u24_sdwa v76, v49, v45 dst_sel:DWORD dst_unused:UNUSED_PAD src0_sel:WORD_0 src1_sel:DWORD
	v_pk_fma_f16 v55, v59, v48, v55
	v_mul_u32_u24_sdwa v59, v49, v45 dst_sel:DWORD dst_unused:UNUSED_PAD src0_sel:WORD_1 src1_sel:DWORD
	v_mul_u32_u24_sdwa v77, v50, v45 dst_sel:DWORD dst_unused:UNUSED_PAD src0_sel:WORD_0 src1_sel:DWORD
	ds_read2_b64 v[47:50], v46 offset0:128 offset1:160
	s_waitcnt lgkmcnt(2)
	v_pk_fma_f16 v69, v60, v76, v69
	v_pk_fma_f16 v56, v60, v83, v56
	;; [unrolled: 1-line block ×16, first 2 shown]
	ds_read2_b64 v[61:64], v46 offset0:192 offset1:224
	s_waitcnt lgkmcnt(0)
	s_barrier
	buffer_gl0_inv
	s_load_dword s18, s[0:1], 0x4
	v_mul_u32_u24_sdwa v68, v51, v45 dst_sel:DWORD dst_unused:UNUSED_PAD src0_sel:WORD_0 src1_sel:DWORD
	v_mul_u32_u24_sdwa v51, v51, v45 dst_sel:DWORD dst_unused:UNUSED_PAD src0_sel:WORD_1 src1_sel:DWORD
	v_mul_u32_u24_sdwa v76, v52, v45 dst_sel:DWORD dst_unused:UNUSED_PAD src0_sel:WORD_0 src1_sel:DWORD
	v_mul_u32_u24_sdwa v52, v52, v45 dst_sel:DWORD dst_unused:UNUSED_PAD src0_sel:WORD_1 src1_sel:DWORD
	v_mul_u32_u24_sdwa v83, v54, v45 dst_sel:DWORD dst_unused:UNUSED_PAD src0_sel:WORD_0 src1_sel:DWORD
	v_pk_fma_f16 v69, v47, v68, v69
	v_pk_fma_f16 v74, v47, v51, v74
	;; [unrolled: 1-line block ×15, first 2 shown]
	v_mul_u32_u24_sdwa v76, v53, v45 dst_sel:DWORD dst_unused:UNUSED_PAD src0_sel:WORD_0 src1_sel:DWORD
	v_mul_u32_u24_sdwa v81, v53, v45 dst_sel:DWORD dst_unused:UNUSED_PAD src0_sel:WORD_1 src1_sel:DWORD
	v_mul_u32_u24_sdwa v84, v54, v45 dst_sel:DWORD dst_unused:UNUSED_PAD src0_sel:WORD_1 src1_sel:DWORD
	v_pk_fma_f16 v85, v50, v52, v55
	s_waitcnt lgkmcnt(0)
	s_lshl_b32 s18, s18, 7
	v_pk_fma_f16 v56, v61, v76, v69
	v_pk_fma_f16 v54, v61, v81, v74
	;; [unrolled: 1-line block ×16, first 2 shown]
	s_add_i32 s6, s18, s6
	s_cmp_ge_i32 s6, s30
	s_cbranch_scc1 .LBB5_83
; %bb.82:                               ;   in Loop: Header=BB5_17 Depth=1
	v_mov_b32_e32 v69, v1
	v_mov_b32_e32 v67, v2
	;; [unrolled: 1-line block ×8, first 2 shown]
	s_branch .LBB5_17
.LBB5_83:
	v_mov_b32_e32 v6, v31
.LBB5_84:
	v_cmp_lt_i32_e32 vcc_lo, v82, v32
	s_cmp_lg_u64 s[16:17], 0
	s_cselect_b32 s0, -1, 0
	s_cmp_eq_u32 s28, 0
	v_cndmask_b32_e32 v5, v6, v82, vcc_lo
	v_cmp_lt_i32_e32 vcc_lo, v27, v32
	s_cselect_b32 s1, -1, 0
	s_and_b32 s0, s1, s0
	v_lshlrev_b32_e32 v5, 2, v5
	v_cndmask_b32_e32 v10, v6, v27, vcc_lo
	v_cmp_lt_i32_e32 vcc_lo, v26, v32
	ds_bpermute_b32 v7, v5, v70
	ds_bpermute_b32 v8, v5, v71
	;; [unrolled: 1-line block ×4, first 2 shown]
	v_lshlrev_b32_e32 v10, 2, v10
	v_cndmask_b32_e32 v16, v6, v26, vcc_lo
	v_cmp_lt_i32_e32 vcc_lo, v25, v32
	v_lshlrev_b32_e32 v16, 2, v16
	s_waitcnt lgkmcnt(3)
	v_add_f32_e32 v7, v70, v7
	s_waitcnt lgkmcnt(2)
	v_add_f32_e32 v8, v71, v8
	;; [unrolled: 2-line block ×4, first 2 shown]
	ds_bpermute_b32 v11, v10, v7
	ds_bpermute_b32 v14, v10, v8
	;; [unrolled: 1-line block ×4, first 2 shown]
	s_waitcnt lgkmcnt(3)
	v_add_f32_e32 v7, v7, v11
	s_waitcnt lgkmcnt(2)
	v_add_f32_e32 v8, v8, v14
	;; [unrolled: 2-line block ×4, first 2 shown]
	ds_bpermute_b32 v10, v16, v7
	ds_bpermute_b32 v11, v16, v8
	;; [unrolled: 1-line block ×4, first 2 shown]
	v_cndmask_b32_e32 v16, v6, v25, vcc_lo
	v_cmp_lt_i32_e32 vcc_lo, v24, v32
	v_lshlrev_b32_e32 v16, 2, v16
	v_cndmask_b32_e32 v6, v6, v24, vcc_lo
	s_and_b32 vcc_lo, exec_lo, s0
	s_mov_b32 s0, 0
	v_lshlrev_b32_e32 v6, 2, v6
	s_waitcnt lgkmcnt(3)
	v_add_f32_e32 v7, v7, v10
	s_waitcnt lgkmcnt(2)
	v_add_f32_e32 v8, v8, v11
	;; [unrolled: 2-line block ×4, first 2 shown]
	ds_bpermute_b32 v10, v16, v7
	ds_bpermute_b32 v11, v16, v8
	;; [unrolled: 1-line block ×4, first 2 shown]
	s_waitcnt lgkmcnt(3)
	v_add_f32_e32 v7, v7, v10
	s_waitcnt lgkmcnt(2)
	v_add_f32_e32 v8, v8, v11
	;; [unrolled: 2-line block ×4, first 2 shown]
	ds_bpermute_b32 v5, v6, v7
	ds_bpermute_b32 v11, v6, v8
	;; [unrolled: 1-line block ×4, first 2 shown]
	s_waitcnt lgkmcnt(3)
	v_add_f32_e32 v5, v7, v5
	s_waitcnt lgkmcnt(2)
	v_add_f32_e32 v6, v8, v11
	;; [unrolled: 2-line block ×4, first 2 shown]
	v_add_nc_u32_e32 v14, s29, v12
	s_cbranch_vccnz .LBB5_87
; %bb.85:
	v_add_nc_u32_e32 v15, s29, v12
	v_mov_b32_e32 v12, v8
	v_mov_b32_e32 v11, v7
	;; [unrolled: 1-line block ×4, first 2 shown]
	s_andn2_b32 vcc_lo, exec_lo, s0
	s_cbranch_vccz .LBB5_88
; %bb.86:
	v_mov_b32_e32 v14, v15
	s_branch .LBB5_89
.LBB5_87:
                                        ; implicit-def: $vgpr15
                                        ; implicit-def: $vgpr9_vgpr10_vgpr11_vgpr12
.LBB5_88:
	v_ashrrev_i32_e32 v15, 31, v14
	v_max_f32_e32 v16, v2, v2
	v_max_f32_e32 v17, v3, v3
	v_max_f32_e32 v19, v4, v4
	v_mov_b32_e32 v23, 0x10001
	v_lshlrev_b64 v[9:10], 2, v[14:15]
	v_max_f32_e32 v15, v1, v1
	v_add_co_u32 v9, vcc_lo, s16, v9
	v_add_co_ci_u32_e64 v10, null, s17, v10, vcc_lo
	global_load_dwordx4 v[9:12], v[9:10], off
	s_waitcnt vmcnt(0)
	v_max_f32_e32 v18, v9, v9
	v_max_f32_e32 v20, v10, v10
	v_max_f32_e32 v21, v11, v11
	v_max_f32_e32 v22, v12, v12
	v_max_f32_e32 v15, v15, v18
	v_max_f32_e32 v16, v16, v20
	v_max_f32_e32 v17, v17, v21
	v_max_f32_e32 v18, v19, v22
	v_sub_f32_e32 v19, v1, v15
	v_sub_f32_e32 v20, v2, v16
	;; [unrolled: 1-line block ×4, first 2 shown]
	v_mov_b32_e32 v1, v15
	v_sub_f32_e32 v9, v9, v15
	v_mov_b32_e32 v2, v16
	v_mov_b32_e32 v3, v17
	;; [unrolled: 1-line block ×3, first 2 shown]
	v_mul_f32_e32 v15, 0x3fb8aa3b, v19
	v_sub_f32_e32 v10, v10, v16
	v_mul_f32_e32 v16, 0x3fb8aa3b, v9
	v_sub_f32_e32 v11, v11, v17
	v_mul_f32_e32 v17, 0x3fb8aa3b, v20
	v_fma_f32 v29, 0x3fb8aa3b, v19, -v15
	v_rndne_f32_e32 v30, v15
	v_fma_f32 v31, 0x3fb8aa3b, v9, -v16
	v_rndne_f32_e32 v32, v16
	v_sub_f32_e32 v12, v12, v18
	v_fmac_f32_e32 v29, 0x32a5705f, v19
	v_sub_f32_e32 v15, v15, v30
	v_mul_f32_e32 v18, 0x3fb8aa3b, v10
	v_fma_f32 v33, 0x3fb8aa3b, v20, -v17
	v_rndne_f32_e32 v34, v17
	v_fmac_f32_e32 v31, 0x32a5705f, v9
	v_sub_f32_e32 v16, v16, v32
	v_add_f32_e32 v15, v15, v29
	v_mul_f32_e32 v24, 0x3fb8aa3b, v21
	v_fma_f32 v35, 0x3fb8aa3b, v10, -v18
	v_rndne_f32_e32 v36, v18
	v_fmac_f32_e32 v33, 0x32a5705f, v20
	v_sub_f32_e32 v17, v17, v34
	v_add_f32_e32 v16, v16, v31
	v_exp_f32_e32 v15, v15
	v_mul_f32_e32 v25, 0x3fb8aa3b, v11
	v_fma_f32 v37, 0x3fb8aa3b, v21, -v24
	v_rndne_f32_e32 v38, v24
	v_cvt_i32_f32_e32 v30, v30
	v_fmac_f32_e32 v35, 0x32a5705f, v10
	v_sub_f32_e32 v18, v18, v36
	v_add_f32_e32 v17, v17, v33
	v_exp_f32_e32 v16, v16
	v_mul_f32_e32 v26, 0x3fb8aa3b, v22
	v_fma_f32 v39, 0x3fb8aa3b, v11, -v25
	v_rndne_f32_e32 v40, v25
	v_cvt_i32_f32_e32 v32, v32
	v_fmac_f32_e32 v37, 0x32a5705f, v21
	v_sub_f32_e32 v24, v24, v38
	v_add_f32_e32 v18, v18, v35
	v_exp_f32_e32 v17, v17
	v_ldexp_f32 v15, v15, v30
	v_cmp_ngt_f32_e32 vcc_lo, 0xc2ce8ed0, v19
	v_mul_f32_e32 v27, 0x3fb8aa3b, v12
	v_fma_f32 v41, 0x3fb8aa3b, v22, -v26
	v_rndne_f32_e32 v42, v26
	v_cvt_i32_f32_e32 v34, v34
	v_fmac_f32_e32 v39, 0x32a5705f, v11
	v_sub_f32_e32 v25, v25, v40
	v_add_f32_e32 v24, v24, v37
	v_exp_f32_e32 v18, v18
	v_ldexp_f32 v16, v16, v32
	v_cndmask_b32_e32 v15, 0, v15, vcc_lo
	v_cmp_ngt_f32_e32 vcc_lo, 0xc2ce8ed0, v9
	v_fma_f32 v43, 0x3fb8aa3b, v12, -v27
	v_rndne_f32_e32 v44, v27
	v_cvt_i32_f32_e32 v36, v36
	v_fmac_f32_e32 v41, 0x32a5705f, v22
	v_sub_f32_e32 v26, v26, v42
	v_add_f32_e32 v25, v25, v39
	v_exp_f32_e32 v24, v24
	v_ldexp_f32 v17, v17, v34
	v_cndmask_b32_e32 v16, 0, v16, vcc_lo
	v_cmp_ngt_f32_e32 vcc_lo, 0xc2ce8ed0, v20
	v_cvt_i32_f32_e32 v38, v38
	v_fmac_f32_e32 v43, 0x32a5705f, v12
	v_sub_f32_e32 v27, v27, v44
	v_add_f32_e32 v26, v26, v41
	v_exp_f32_e32 v25, v25
	v_ldexp_f32 v18, v18, v36
	v_cndmask_b32_e32 v17, 0, v17, vcc_lo
	v_cmp_ngt_f32_e32 vcc_lo, 0xc2ce8ed0, v10
	v_cvt_i32_f32_e32 v40, v40
	v_add_f32_e32 v27, v27, v43
	v_exp_f32_e32 v26, v26
	v_ldexp_f32 v24, v24, v38
	v_cndmask_b32_e32 v18, 0, v18, vcc_lo
	v_cmp_ngt_f32_e32 vcc_lo, 0xc2ce8ed0, v21
	v_exp_f32_e32 v27, v27
	v_cvt_i32_f32_e32 v29, v42
	v_ldexp_f32 v25, v25, v40
	v_cvt_i32_f32_e32 v31, v44
	v_cndmask_b32_e32 v24, 0, v24, vcc_lo
	v_cmp_ngt_f32_e32 vcc_lo, 0xc2ce8ed0, v11
	v_ldexp_f32 v26, v26, v29
	v_cndmask_b32_e32 v25, 0, v25, vcc_lo
	v_cmp_ngt_f32_e32 vcc_lo, 0xc2ce8ed0, v22
	v_ldexp_f32 v27, v27, v31
	v_cndmask_b32_e32 v26, 0, v26, vcc_lo
	v_cmp_ngt_f32_e32 vcc_lo, 0xc2ce8ed0, v12
	v_cndmask_b32_e32 v27, 0, v27, vcc_lo
	v_cmp_nlt_f32_e32 vcc_lo, 0x42b17218, v19
	v_cndmask_b32_e32 v15, 0x7f800000, v15, vcc_lo
	v_cmp_nlt_f32_e32 vcc_lo, 0x42b17218, v9
	;; [unrolled: 2-line block ×3, first 2 shown]
	v_fmac_f32_e32 v9, v5, v15
	v_cndmask_b32_e32 v16, 0x7f800000, v17, vcc_lo
	v_cmp_nlt_f32_e32 vcc_lo, 0x42b17218, v10
	v_cvt_f16_f32_e32 v5, v15
	v_cndmask_b32_e32 v10, 0x7f800000, v18, vcc_lo
	v_cmp_nlt_f32_e32 vcc_lo, 0x42b17218, v21
	v_fmac_f32_e32 v10, v6, v16
	v_cndmask_b32_e32 v17, 0x7f800000, v24, vcc_lo
	v_cmp_nlt_f32_e32 vcc_lo, 0x42b17218, v11
	v_cvt_f16_f32_e32 v6, v16
	v_cndmask_b32_e32 v11, 0x7f800000, v25, vcc_lo
	v_cmp_nlt_f32_e32 vcc_lo, 0x42b17218, v22
	v_mul_u32_u24_sdwa v16, v6, v23 dst_sel:DWORD dst_unused:UNUSED_PAD src0_sel:WORD_0 src1_sel:DWORD
	v_mov_b32_e32 v6, v10
	v_fmac_f32_e32 v11, v7, v17
	v_cndmask_b32_e32 v18, 0x7f800000, v26, vcc_lo
	v_cmp_nlt_f32_e32 vcc_lo, 0x42b17218, v12
	v_cvt_f16_f32_e32 v7, v17
	v_pk_mul_f16 v54, v54, v16
	v_pk_mul_f16 v58, v58, v16
	v_cvt_f16_f32_e32 v15, v18
	v_cndmask_b32_e32 v12, 0x7f800000, v27, vcc_lo
	v_mul_u32_u24_sdwa v17, v7, v23 dst_sel:DWORD dst_unused:UNUSED_PAD src0_sel:WORD_0 src1_sel:DWORD
	v_mov_b32_e32 v7, v11
	v_pk_mul_f16 v57, v57, v16
	v_mul_u32_u24_sdwa v15, v15, v23 dst_sel:DWORD dst_unused:UNUSED_PAD src0_sel:WORD_0 src1_sel:DWORD
	v_fmac_f32_e32 v12, v8, v18
	v_mul_u32_u24_sdwa v8, v5, v23 dst_sel:DWORD dst_unused:UNUSED_PAD src0_sel:WORD_0 src1_sel:DWORD
	v_mov_b32_e32 v5, v9
	v_pk_mul_f16 v55, v55, v16
	v_pk_mul_f16 v50, v50, v17
	;; [unrolled: 1-line block ×13, first 2 shown]
	v_mov_b32_e32 v8, v12
.LBB5_89:
	s_load_dword s1, s[4:5], 0xd4
	v_mov_b32_e32 v15, 1.0
	s_waitcnt lgkmcnt(0)
	s_cmp_lg_u32 s1, 1
	s_cselect_b32 s5, -1, 0
	s_cmp_eq_u32 s1, 1
	s_cselect_b32 s4, -1, 0
	s_and_b32 vcc_lo, exec_lo, s5
	s_cbranch_vccnz .LBB5_91
; %bb.90:
	v_div_scale_f32 v15, null, v5, v5, 1.0
	v_rcp_f32_e32 v16, v15
	v_fma_f32 v17, -v15, v16, 1.0
	v_fmac_f32_e32 v16, v17, v16
	v_div_scale_f32 v17, vcc_lo, 1.0, v5, 1.0
	v_mul_f32_e32 v18, v17, v16
	v_fma_f32 v19, -v15, v18, v17
	v_fmac_f32_e32 v18, v19, v16
	v_fma_f32 v15, -v15, v18, v17
	v_div_fmas_f32 v15, v15, v16, v18
	v_div_fixup_f32 v15, v15, v5, 1.0
.LBB5_91:
	v_mad_u64_u32 v[16:17], null, s7, s2, v[13:14]
	v_mov_b32_e32 v25, 0
	v_cmp_eq_u32_e32 vcc_lo, 0, v0
	v_cvt_f32_f16_sdwa v0, v61 dst_sel:DWORD dst_unused:UNUSED_PAD src0_sel:WORD_1
	v_cvt_f32_f16_e32 v5, v61
	v_cvt_f32_f16_sdwa v20, v60 dst_sel:DWORD dst_unused:UNUSED_PAD src0_sel:WORD_1
	v_cvt_f32_f16_e32 v21, v60
	v_mad_u64_u32 v[13:14], null, v16, s3, v[14:15]
	v_cvt_f32_f16_e32 v16, v56
	v_cvt_f32_f16_sdwa v29, v59 dst_sel:DWORD dst_unused:UNUSED_PAD src0_sel:WORD_1
	v_cvt_f32_f16_e32 v30, v59
	v_mul_f32_e32 v19, v15, v0
	v_mul_f32_e32 v18, v15, v5
	;; [unrolled: 1-line block ×3, first 2 shown]
	v_mad_u64_u32 v[13:14], null, s1, v13, s[28:29]
	v_cvt_f32_f16_sdwa v14, v56 dst_sel:DWORD dst_unused:UNUSED_PAD src0_sel:WORD_1
	v_mul_f32_e32 v23, v15, v20
	v_mul_f32_e32 v22, v15, v21
	;; [unrolled: 1-line block ×5, first 2 shown]
	v_lshl_add_u32 v24, v13, 8, v28
	v_lshlrev_b64 v[26:27], 2, v[24:25]
	v_add_nc_u32_e32 v24, 0x80, v24
	v_lshlrev_b64 v[14:15], 2, v[24:25]
	v_add_co_u32 v24, s0, s20, v26
	v_add_co_ci_u32_e64 v25, null, s21, v27, s0
	v_add_co_u32 v14, s0, s20, v14
	v_add_co_ci_u32_e64 v15, null, s21, v15, s0
	s_and_b32 s0, vcc_lo, s5
	global_store_dwordx4 v[24:25], v[16:19], off
	global_store_dwordx4 v[14:15], v[20:23], off
	s_and_saveexec_b32 s2, s0
	s_cbranch_execz .LBB5_93
; %bb.92:
	v_ashrrev_i32_e32 v14, 31, v13
	v_mov_b32_e32 v0, v1
	v_mov_b32_e32 v1, v9
	v_lshlrev_b64 v[14:15], 3, v[13:14]
	v_add_co_u32 v14, vcc_lo, s22, v14
	v_add_co_ci_u32_e64 v15, null, s23, v15, vcc_lo
	global_store_dwordx2 v[14:15], v[0:1], off
.LBB5_93:
	s_or_b32 exec_lo, exec_lo, s2
	v_cndmask_b32_e64 v5, 0, 1, s4
	v_mov_b32_e32 v1, 1.0
	s_andn2_b32 vcc_lo, exec_lo, s4
	s_cbranch_vccnz .LBB5_95
; %bb.94:
	v_div_scale_f32 v0, null, v6, v6, 1.0
	v_rcp_f32_e32 v1, v0
	v_fma_f32 v9, -v0, v1, 1.0
	v_fmac_f32_e32 v1, v9, v1
	v_div_scale_f32 v9, vcc_lo, 1.0, v6, 1.0
	v_mul_f32_e32 v14, v9, v1
	v_fma_f32 v15, -v0, v14, v9
	v_fmac_f32_e32 v14, v15, v1
	v_fma_f32 v0, -v0, v14, v9
	v_div_fmas_f32 v0, v0, v1, v14
	v_div_fixup_f32 v1, v0, v6, 1.0
.LBB5_95:
	v_add_nc_u32_e32 v0, s1, v13
	v_mov_b32_e32 v18, 0
	v_cvt_f32_f16_sdwa v6, v58 dst_sel:DWORD dst_unused:UNUSED_PAD src0_sel:WORD_1
	v_cvt_f32_f16_e32 v9, v58
	v_cvt_f32_f16_sdwa v13, v54 dst_sel:DWORD dst_unused:UNUSED_PAD src0_sel:WORD_1
	v_lshl_add_u32 v17, v0, 8, v28
	v_cvt_f32_f16_e32 v21, v54
	v_mul_f32_e32 v16, v1, v6
	v_mul_f32_e32 v15, v1, v9
	v_cvt_f32_f16_sdwa v6, v55 dst_sel:DWORD dst_unused:UNUSED_PAD src0_sel:WORD_1
	v_lshlrev_b64 v[19:20], 2, v[17:18]
	v_add_nc_u32_e32 v17, 0x80, v17
	v_cvt_f32_f16_e32 v9, v55
	v_cvt_f32_f16_sdwa v25, v57 dst_sel:DWORD dst_unused:UNUSED_PAD src0_sel:WORD_1
	v_cvt_f32_f16_e32 v26, v57
	v_mul_f32_e32 v14, v1, v13
	v_lshlrev_b64 v[23:24], 2, v[17:18]
	v_mul_f32_e32 v13, v1, v21
	v_add_co_u32 v21, vcc_lo, s20, v19
	v_add_co_ci_u32_e64 v22, null, s21, v20, vcc_lo
	v_add_co_u32 v23, vcc_lo, s20, v23
	v_mul_f32_e32 v20, v1, v6
	v_mul_f32_e32 v19, v1, v9
	;; [unrolled: 1-line block ×4, first 2 shown]
	v_add_co_ci_u32_e64 v24, null, s21, v24, vcc_lo
	global_store_dwordx4 v[21:22], v[13:16], off
	global_store_dwordx4 v[23:24], v[17:20], off
	s_and_saveexec_b32 s2, s0
	s_cbranch_execz .LBB5_97
; %bb.96:
	v_ashrrev_i32_e32 v1, 31, v0
	v_mov_b32_e32 v9, v2
	v_lshlrev_b64 v[13:14], 3, v[0:1]
	v_add_co_u32 v13, vcc_lo, s22, v13
	v_add_co_ci_u32_e64 v14, null, s23, v14, vcc_lo
	global_store_dwordx2 v[13:14], v[9:10], off
.LBB5_97:
	s_or_b32 exec_lo, exec_lo, s2
	v_cmp_ne_u32_e32 vcc_lo, 1, v5
	v_mov_b32_e32 v1, 1.0
	s_cbranch_vccnz .LBB5_99
; %bb.98:
	v_div_scale_f32 v1, null, v7, v7, 1.0
	v_rcp_f32_e32 v2, v1
	v_fma_f32 v6, -v1, v2, 1.0
	v_fmac_f32_e32 v2, v6, v2
	v_div_scale_f32 v6, vcc_lo, 1.0, v7, 1.0
	v_mul_f32_e32 v9, v6, v2
	v_fma_f32 v10, -v1, v9, v6
	v_fmac_f32_e32 v9, v10, v2
	v_fma_f32 v1, -v1, v9, v6
	v_div_fmas_f32 v1, v1, v2, v9
	v_div_fixup_f32 v1, v1, v7, 1.0
.LBB5_99:
	v_add_nc_u32_e32 v0, s1, v0
	v_mov_b32_e32 v7, 0
	v_cvt_f32_f16_sdwa v2, v53 dst_sel:DWORD dst_unused:UNUSED_PAD src0_sel:WORD_1
	v_cvt_f32_f16_e32 v13, v53
	v_cvt_f32_f16_e32 v17, v50
	v_lshl_add_u32 v6, v0, 8, v28
	v_cvt_f32_f16_sdwa v14, v50 dst_sel:DWORD dst_unused:UNUSED_PAD src0_sel:WORD_1
	v_mul_f32_e32 v16, v1, v2
	v_mul_f32_e32 v15, v1, v13
	;; [unrolled: 1-line block ×3, first 2 shown]
	v_lshlrev_b64 v[9:10], 2, v[6:7]
	v_add_nc_u32_e32 v6, 0x80, v6
	v_cvt_f32_f16_sdwa v2, v52 dst_sel:DWORD dst_unused:UNUSED_PAD src0_sel:WORD_1
	v_cvt_f32_f16_e32 v17, v52
	v_cvt_f32_f16_sdwa v18, v51 dst_sel:DWORD dst_unused:UNUSED_PAD src0_sel:WORD_1
	v_cvt_f32_f16_e32 v21, v51
	v_lshlrev_b64 v[6:7], 2, v[6:7]
	v_add_co_u32 v9, vcc_lo, s20, v9
	v_mul_f32_e32 v14, v1, v14
	v_add_co_ci_u32_e64 v10, null, s21, v10, vcc_lo
	v_mul_f32_e32 v20, v1, v2
	v_mul_f32_e32 v19, v1, v17
	;; [unrolled: 1-line block ×4, first 2 shown]
	v_add_co_u32 v1, vcc_lo, s20, v6
	v_add_co_ci_u32_e64 v2, null, s21, v7, vcc_lo
	global_store_dwordx4 v[9:10], v[13:16], off
	global_store_dwordx4 v[1:2], v[17:20], off
	s_and_saveexec_b32 s2, s0
	s_cbranch_execz .LBB5_101
; %bb.100:
	v_ashrrev_i32_e32 v1, 31, v0
	v_mov_b32_e32 v10, v3
	v_lshlrev_b64 v[1:2], 3, v[0:1]
	v_add_co_u32 v1, vcc_lo, s22, v1
	v_add_co_ci_u32_e64 v2, null, s23, v2, vcc_lo
	global_store_dwordx2 v[1:2], v[10:11], off
.LBB5_101:
	s_or_b32 exec_lo, exec_lo, s2
	v_cmp_ne_u32_e32 vcc_lo, 1, v5
	v_mov_b32_e32 v1, 1.0
	s_cbranch_vccnz .LBB5_103
; %bb.102:
	v_div_scale_f32 v1, null, v8, v8, 1.0
	v_rcp_f32_e32 v2, v1
	v_fma_f32 v3, -v1, v2, 1.0
	v_fmac_f32_e32 v2, v3, v2
	v_div_scale_f32 v3, vcc_lo, 1.0, v8, 1.0
	v_mul_f32_e32 v5, v3, v2
	v_fma_f32 v6, -v1, v5, v3
	v_fmac_f32_e32 v5, v6, v2
	v_fma_f32 v1, -v1, v5, v3
	v_div_fmas_f32 v1, v1, v2, v5
	v_div_fixup_f32 v1, v1, v8, 1.0
.LBB5_103:
	v_add_nc_u32_e32 v0, s1, v0
	v_mov_b32_e32 v3, 0
	v_cvt_f32_f16_sdwa v5, v49 dst_sel:DWORD dst_unused:UNUSED_PAD src0_sel:WORD_1
	v_cvt_f32_f16_e32 v6, v49
	v_cvt_f32_f16_sdwa v11, v48 dst_sel:DWORD dst_unused:UNUSED_PAD src0_sel:WORD_1
	v_lshl_add_u32 v2, v0, 8, v28
	v_cvt_f32_f16_e32 v13, v48
	v_mul_f32_e32 v8, v1, v5
	v_mul_f32_e32 v7, v1, v6
	;; [unrolled: 1-line block ×3, first 2 shown]
	v_lshlrev_b64 v[9:10], 2, v[2:3]
	v_add_nc_u32_e32 v2, 0x80, v2
	v_mul_f32_e32 v5, v1, v13
	v_cvt_f32_f16_sdwa v11, v46 dst_sel:DWORD dst_unused:UNUSED_PAD src0_sel:WORD_1
	v_cvt_f32_f16_e32 v13, v46
	v_cvt_f32_f16_sdwa v14, v47 dst_sel:DWORD dst_unused:UNUSED_PAD src0_sel:WORD_1
	v_lshlrev_b64 v[2:3], 2, v[2:3]
	v_cvt_f32_f16_e32 v17, v47
	v_add_co_u32 v9, vcc_lo, s20, v9
	v_add_co_ci_u32_e64 v10, null, s21, v10, vcc_lo
	v_mul_f32_e32 v16, v1, v11
	v_mul_f32_e32 v15, v1, v13
	;; [unrolled: 1-line block ×4, first 2 shown]
	v_add_co_u32 v1, vcc_lo, s20, v2
	v_add_co_ci_u32_e64 v2, null, s21, v3, vcc_lo
	global_store_dwordx4 v[9:10], v[5:8], off
	global_store_dwordx4 v[1:2], v[13:16], off
	s_and_saveexec_b32 s1, s0
	s_cbranch_execz .LBB5_105
; %bb.104:
	v_ashrrev_i32_e32 v1, 31, v0
	v_mov_b32_e32 v11, v4
	v_lshlrev_b64 v[0:1], 3, v[0:1]
	v_add_co_u32 v0, vcc_lo, s22, v0
	v_add_co_ci_u32_e64 v1, null, s23, v1, vcc_lo
	global_store_dwordx2 v[0:1], v[11:12], off
.LBB5_105:
	s_endpgm
	.section	.rodata,"a",@progbits
	.p2align	6, 0x0
	.amdhsa_kernel _ZL15flash_attn_tileILi320ELi256ELi1ELi32ELb1EEvPKcS1_S1_S1_S1_PKiPfP15HIP_vector_typeIfLj2EEffffjfiS5_IjLj3EEiiiiiiiiiiiliiliiiiil
		.amdhsa_group_segment_fixed_size 47104
		.amdhsa_private_segment_fixed_size 0
		.amdhsa_kernarg_size 464
		.amdhsa_user_sgpr_count 6
		.amdhsa_user_sgpr_private_segment_buffer 1
		.amdhsa_user_sgpr_dispatch_ptr 0
		.amdhsa_user_sgpr_queue_ptr 0
		.amdhsa_user_sgpr_kernarg_segment_ptr 1
		.amdhsa_user_sgpr_dispatch_id 0
		.amdhsa_user_sgpr_flat_scratch_init 0
		.amdhsa_user_sgpr_private_segment_size 0
		.amdhsa_wavefront_size32 1
		.amdhsa_uses_dynamic_stack 0
		.amdhsa_system_sgpr_private_segment_wavefront_offset 0
		.amdhsa_system_sgpr_workgroup_id_x 1
		.amdhsa_system_sgpr_workgroup_id_y 1
		.amdhsa_system_sgpr_workgroup_id_z 1
		.amdhsa_system_sgpr_workgroup_info 0
		.amdhsa_system_vgpr_workitem_id 1
		.amdhsa_next_free_vgpr 195
		.amdhsa_next_free_sgpr 40
		.amdhsa_reserve_vcc 1
		.amdhsa_reserve_flat_scratch 0
		.amdhsa_float_round_mode_32 0
		.amdhsa_float_round_mode_16_64 0
		.amdhsa_float_denorm_mode_32 3
		.amdhsa_float_denorm_mode_16_64 3
		.amdhsa_dx10_clamp 1
		.amdhsa_ieee_mode 1
		.amdhsa_fp16_overflow 0
		.amdhsa_workgroup_processor_mode 1
		.amdhsa_memory_ordered 1
		.amdhsa_forward_progress 1
		.amdhsa_shared_vgpr_count 0
		.amdhsa_exception_fp_ieee_invalid_op 0
		.amdhsa_exception_fp_denorm_src 0
		.amdhsa_exception_fp_ieee_div_zero 0
		.amdhsa_exception_fp_ieee_overflow 0
		.amdhsa_exception_fp_ieee_underflow 0
		.amdhsa_exception_fp_ieee_inexact 0
		.amdhsa_exception_int_div_zero 0
	.end_amdhsa_kernel
	.section	.text._ZL15flash_attn_tileILi320ELi256ELi1ELi32ELb1EEvPKcS1_S1_S1_S1_PKiPfP15HIP_vector_typeIfLj2EEffffjfiS5_IjLj3EEiiiiiiiiiiiliiliiiiil,"axG",@progbits,_ZL15flash_attn_tileILi320ELi256ELi1ELi32ELb1EEvPKcS1_S1_S1_S1_PKiPfP15HIP_vector_typeIfLj2EEffffjfiS5_IjLj3EEiiiiiiiiiiiliiliiiiil,comdat
.Lfunc_end5:
	.size	_ZL15flash_attn_tileILi320ELi256ELi1ELi32ELb1EEvPKcS1_S1_S1_S1_PKiPfP15HIP_vector_typeIfLj2EEffffjfiS5_IjLj3EEiiiiiiiiiiiliiliiiiil, .Lfunc_end5-_ZL15flash_attn_tileILi320ELi256ELi1ELi32ELb1EEvPKcS1_S1_S1_S1_PKiPfP15HIP_vector_typeIfLj2EEffffjfiS5_IjLj3EEiiiiiiiiiiiliiliiiiil
                                        ; -- End function
	.set _ZL15flash_attn_tileILi320ELi256ELi1ELi32ELb1EEvPKcS1_S1_S1_S1_PKiPfP15HIP_vector_typeIfLj2EEffffjfiS5_IjLj3EEiiiiiiiiiiiliiliiiiil.num_vgpr, 195
	.set _ZL15flash_attn_tileILi320ELi256ELi1ELi32ELb1EEvPKcS1_S1_S1_S1_PKiPfP15HIP_vector_typeIfLj2EEffffjfiS5_IjLj3EEiiiiiiiiiiiliiliiiiil.num_agpr, 0
	.set _ZL15flash_attn_tileILi320ELi256ELi1ELi32ELb1EEvPKcS1_S1_S1_S1_PKiPfP15HIP_vector_typeIfLj2EEffffjfiS5_IjLj3EEiiiiiiiiiiiliiliiiiil.numbered_sgpr, 40
	.set _ZL15flash_attn_tileILi320ELi256ELi1ELi32ELb1EEvPKcS1_S1_S1_S1_PKiPfP15HIP_vector_typeIfLj2EEffffjfiS5_IjLj3EEiiiiiiiiiiiliiliiiiil.num_named_barrier, 0
	.set _ZL15flash_attn_tileILi320ELi256ELi1ELi32ELb1EEvPKcS1_S1_S1_S1_PKiPfP15HIP_vector_typeIfLj2EEffffjfiS5_IjLj3EEiiiiiiiiiiiliiliiiiil.private_seg_size, 0
	.set _ZL15flash_attn_tileILi320ELi256ELi1ELi32ELb1EEvPKcS1_S1_S1_S1_PKiPfP15HIP_vector_typeIfLj2EEffffjfiS5_IjLj3EEiiiiiiiiiiiliiliiiiil.uses_vcc, 1
	.set _ZL15flash_attn_tileILi320ELi256ELi1ELi32ELb1EEvPKcS1_S1_S1_S1_PKiPfP15HIP_vector_typeIfLj2EEffffjfiS5_IjLj3EEiiiiiiiiiiiliiliiiiil.uses_flat_scratch, 0
	.set _ZL15flash_attn_tileILi320ELi256ELi1ELi32ELb1EEvPKcS1_S1_S1_S1_PKiPfP15HIP_vector_typeIfLj2EEffffjfiS5_IjLj3EEiiiiiiiiiiiliiliiiiil.has_dyn_sized_stack, 0
	.set _ZL15flash_attn_tileILi320ELi256ELi1ELi32ELb1EEvPKcS1_S1_S1_S1_PKiPfP15HIP_vector_typeIfLj2EEffffjfiS5_IjLj3EEiiiiiiiiiiiliiliiiiil.has_recursion, 0
	.set _ZL15flash_attn_tileILi320ELi256ELi1ELi32ELb1EEvPKcS1_S1_S1_S1_PKiPfP15HIP_vector_typeIfLj2EEffffjfiS5_IjLj3EEiiiiiiiiiiiliiliiiiil.has_indirect_call, 0
	.section	.AMDGPU.csdata,"",@progbits
; Kernel info:
; codeLenInByte = 91388
; TotalNumSgprs: 42
; NumVgprs: 195
; ScratchSize: 0
; MemoryBound: 0
; FloatMode: 240
; IeeeMode: 1
; LDSByteSize: 47104 bytes/workgroup (compile time only)
; SGPRBlocks: 0
; VGPRBlocks: 24
; NumSGPRsForWavesPerEU: 42
; NumVGPRsForWavesPerEU: 195
; Occupancy: 4
; WaveLimiterHint : 1
; COMPUTE_PGM_RSRC2:SCRATCH_EN: 0
; COMPUTE_PGM_RSRC2:USER_SGPR: 6
; COMPUTE_PGM_RSRC2:TRAP_HANDLER: 0
; COMPUTE_PGM_RSRC2:TGID_X_EN: 1
; COMPUTE_PGM_RSRC2:TGID_Y_EN: 1
; COMPUTE_PGM_RSRC2:TGID_Z_EN: 1
; COMPUTE_PGM_RSRC2:TIDIG_COMP_CNT: 1
	.section	.AMDGPU.gpr_maximums,"",@progbits
	.set amdgpu.max_num_vgpr, 0
	.set amdgpu.max_num_agpr, 0
	.set amdgpu.max_num_sgpr, 0
	.section	.AMDGPU.csdata,"",@progbits
	.type	__hip_cuid_a24c1c336f3bb5db,@object ; @__hip_cuid_a24c1c336f3bb5db
	.section	.bss,"aw",@nobits
	.globl	__hip_cuid_a24c1c336f3bb5db
__hip_cuid_a24c1c336f3bb5db:
	.byte	0                               ; 0x0
	.size	__hip_cuid_a24c1c336f3bb5db, 1

	.ident	"AMD clang version 22.0.0git (https://github.com/RadeonOpenCompute/llvm-project roc-7.2.4 26084 f58b06dce1f9c15707c5f808fd002e18c2accf7e)"
	.section	".note.GNU-stack","",@progbits
	.addrsig
	.addrsig_sym __hip_cuid_a24c1c336f3bb5db
	.amdgpu_metadata
---
amdhsa.kernels:
  - .args:
      - .address_space:  global
        .offset:         0
        .size:           8
        .value_kind:     global_buffer
      - .address_space:  global
        .offset:         8
        .size:           8
        .value_kind:     global_buffer
      - .address_space:  global
        .offset:         16
        .size:           8
        .value_kind:     global_buffer
      - .address_space:  global
        .offset:         24
        .size:           8
        .value_kind:     global_buffer
      - .address_space:  global
        .offset:         32
        .size:           8
        .value_kind:     global_buffer
      - .address_space:  global
        .offset:         40
        .size:           8
        .value_kind:     global_buffer
      - .address_space:  global
        .offset:         48
        .size:           8
        .value_kind:     global_buffer
      - .address_space:  global
        .offset:         56
        .size:           8
        .value_kind:     global_buffer
      - .offset:         64
        .size:           4
        .value_kind:     by_value
      - .offset:         68
        .size:           4
        .value_kind:     by_value
      - .offset:         72
        .size:           4
        .value_kind:     by_value
      - .offset:         76
        .size:           4
        .value_kind:     by_value
      - .offset:         80
        .size:           4
        .value_kind:     by_value
      - .offset:         84
        .size:           4
        .value_kind:     by_value
      - .offset:         88
        .size:           4
        .value_kind:     by_value
      - .offset:         92
        .size:           12
        .value_kind:     by_value
      - .offset:         104
        .size:           4
        .value_kind:     by_value
      - .offset:         108
        .size:           4
        .value_kind:     by_value
      - .offset:         112
        .size:           4
        .value_kind:     by_value
      - .offset:         116
        .size:           4
        .value_kind:     by_value
      - .offset:         120
        .size:           4
        .value_kind:     by_value
      - .offset:         124
        .size:           4
        .value_kind:     by_value
      - .offset:         128
        .size:           4
        .value_kind:     by_value
      - .offset:         132
        .size:           4
        .value_kind:     by_value
      - .offset:         136
        .size:           4
        .value_kind:     by_value
      - .offset:         140
        .size:           4
        .value_kind:     by_value
      - .offset:         144
        .size:           4
        .value_kind:     by_value
      - .offset:         152
        .size:           8
        .value_kind:     by_value
      - .offset:         160
        .size:           4
        .value_kind:     by_value
      - .offset:         164
        .size:           4
        .value_kind:     by_value
      - .offset:         168
        .size:           8
        .value_kind:     by_value
      - .offset:         176
        .size:           4
        .value_kind:     by_value
      - .offset:         180
        .size:           4
        .value_kind:     by_value
      - .offset:         184
        .size:           4
        .value_kind:     by_value
      - .offset:         188
        .size:           4
        .value_kind:     by_value
      - .offset:         192
        .size:           4
        .value_kind:     by_value
      - .offset:         200
        .size:           8
        .value_kind:     by_value
      - .offset:         208
        .size:           4
        .value_kind:     hidden_block_count_x
      - .offset:         212
        .size:           4
        .value_kind:     hidden_block_count_y
      - .offset:         216
        .size:           4
        .value_kind:     hidden_block_count_z
      - .offset:         220
        .size:           2
        .value_kind:     hidden_group_size_x
      - .offset:         222
        .size:           2
        .value_kind:     hidden_group_size_y
      - .offset:         224
        .size:           2
        .value_kind:     hidden_group_size_z
      - .offset:         226
        .size:           2
        .value_kind:     hidden_remainder_x
      - .offset:         228
        .size:           2
        .value_kind:     hidden_remainder_y
      - .offset:         230
        .size:           2
        .value_kind:     hidden_remainder_z
      - .offset:         248
        .size:           8
        .value_kind:     hidden_global_offset_x
      - .offset:         256
        .size:           8
        .value_kind:     hidden_global_offset_y
      - .offset:         264
        .size:           8
        .value_kind:     hidden_global_offset_z
      - .offset:         272
        .size:           2
        .value_kind:     hidden_grid_dims
    .group_segment_fixed_size: 47104
    .kernarg_segment_align: 8
    .kernarg_segment_size: 464
    .language:       OpenCL C
    .language_version:
      - 2
      - 0
    .max_flat_workgroup_size: 256
    .name:           _ZL15flash_attn_tileILi320ELi256ELi1ELi32ELb0EEvPKcS1_S1_S1_S1_PKiPfP15HIP_vector_typeIfLj2EEffffjfiS5_IjLj3EEiiiiiiiiiiiliiliiiiil
    .private_segment_fixed_size: 0
    .sgpr_count:     42
    .sgpr_spill_count: 0
    .symbol:         _ZL15flash_attn_tileILi320ELi256ELi1ELi32ELb0EEvPKcS1_S1_S1_S1_PKiPfP15HIP_vector_typeIfLj2EEffffjfiS5_IjLj3EEiiiiiiiiiiiliiliiiiil.kd
    .uniform_work_group_size: 1
    .uses_dynamic_stack: false
    .vgpr_count:     130
    .vgpr_spill_count: 0
    .wavefront_size: 32
    .workgroup_processor_mode: 1
  - .args:
      - .actual_access:  read_only
        .address_space:  global
        .offset:         0
        .size:           8
        .value_kind:     global_buffer
      - .actual_access:  write_only
        .address_space:  global
        .offset:         8
        .size:           8
        .value_kind:     global_buffer
      - .offset:         16
        .size:           4
        .value_kind:     by_value
      - .offset:         20
        .size:           4
        .value_kind:     by_value
      - .offset:         24
        .size:           4
        .value_kind:     by_value
      - .offset:         32
        .size:           4
        .value_kind:     hidden_block_count_x
      - .offset:         36
        .size:           4
        .value_kind:     hidden_block_count_y
      - .offset:         40
        .size:           4
        .value_kind:     hidden_block_count_z
      - .offset:         44
        .size:           2
        .value_kind:     hidden_group_size_x
      - .offset:         46
        .size:           2
        .value_kind:     hidden_group_size_y
      - .offset:         48
        .size:           2
        .value_kind:     hidden_group_size_z
      - .offset:         50
        .size:           2
        .value_kind:     hidden_remainder_x
      - .offset:         52
        .size:           2
        .value_kind:     hidden_remainder_y
      - .offset:         54
        .size:           2
        .value_kind:     hidden_remainder_z
      - .offset:         72
        .size:           8
        .value_kind:     hidden_global_offset_x
      - .offset:         80
        .size:           8
        .value_kind:     hidden_global_offset_y
      - .offset:         88
        .size:           8
        .value_kind:     hidden_global_offset_z
      - .offset:         96
        .size:           2
        .value_kind:     hidden_grid_dims
    .group_segment_fixed_size: 128
    .kernarg_segment_align: 8
    .kernarg_segment_size: 288
    .language:       OpenCL C
    .language_version:
      - 2
      - 0
    .max_flat_workgroup_size: 128
    .name:           _ZL25flash_attn_mask_to_KV_maxILi1EEvPK7__half2Piiii
    .private_segment_fixed_size: 0
    .sgpr_count:     18
    .sgpr_spill_count: 0
    .symbol:         _ZL25flash_attn_mask_to_KV_maxILi1EEvPK7__half2Piiii.kd
    .uniform_work_group_size: 1
    .uses_dynamic_stack: false
    .vgpr_count:     8
    .vgpr_spill_count: 0
    .wavefront_size: 32
    .workgroup_processor_mode: 1
  - .args:
      - .address_space:  global
        .offset:         0
        .size:           8
        .value_kind:     global_buffer
      - .address_space:  global
        .offset:         8
        .size:           8
        .value_kind:     global_buffer
      - .offset:         16
        .size:           4
        .value_kind:     by_value
      - .offset:         20
        .size:           4
        .value_kind:     by_value
      - .offset:         24
        .size:           4
        .value_kind:     by_value
      - .offset:         28
        .size:           4
        .value_kind:     by_value
      - .offset:         32
        .size:           4
        .value_kind:     by_value
      - .offset:         36
        .size:           4
        .value_kind:     by_value
      - .offset:         40
        .size:           12
        .value_kind:     by_value
      - .offset:         52
        .size:           12
        .value_kind:     by_value
      - .offset:         64
        .size:           12
        .value_kind:     by_value
    .group_segment_fixed_size: 0
    .kernarg_segment_align: 8
    .kernarg_segment_size: 76
    .language:       OpenCL C
    .language_version:
      - 2
      - 0
    .max_flat_workgroup_size: 256
    .name:           _ZL33flash_attn_stream_k_fixup_uniformILi256ELi1ELi32EEvPfPK15HIP_vector_typeIfLj2EEiiiiiiS1_IjLj3EES5_S5_
    .private_segment_fixed_size: 0
    .sgpr_count:     22
    .sgpr_spill_count: 0
    .symbol:         _ZL33flash_attn_stream_k_fixup_uniformILi256ELi1ELi32EEvPfPK15HIP_vector_typeIfLj2EEiiiiiiS1_IjLj3EES5_S5_.kd
    .uniform_work_group_size: 1
    .uses_dynamic_stack: false
    .vgpr_count:     15
    .vgpr_spill_count: 0
    .wavefront_size: 32
    .workgroup_processor_mode: 1
  - .args:
      - .address_space:  global
        .offset:         0
        .size:           8
        .value_kind:     global_buffer
      - .address_space:  global
        .offset:         8
        .size:           8
        .value_kind:     global_buffer
      - .offset:         16
        .size:           4
        .value_kind:     by_value
      - .offset:         20
        .size:           4
        .value_kind:     by_value
      - .offset:         24
        .size:           4
        .value_kind:     by_value
      - .offset:         28
        .size:           4
        .value_kind:     by_value
      - .offset:         32
        .size:           12
        .value_kind:     by_value
      - .offset:         44
        .size:           12
        .value_kind:     by_value
      - .offset:         56
        .size:           12
        .value_kind:     by_value
      - .offset:         68
        .size:           12
        .value_kind:     by_value
      - .offset:         80
        .size:           4
        .value_kind:     hidden_block_count_x
      - .offset:         84
        .size:           4
        .value_kind:     hidden_block_count_y
      - .offset:         88
        .size:           4
        .value_kind:     hidden_block_count_z
      - .offset:         92
        .size:           2
        .value_kind:     hidden_group_size_x
      - .offset:         94
        .size:           2
        .value_kind:     hidden_group_size_y
      - .offset:         96
        .size:           2
        .value_kind:     hidden_group_size_z
      - .offset:         98
        .size:           2
        .value_kind:     hidden_remainder_x
      - .offset:         100
        .size:           2
        .value_kind:     hidden_remainder_y
      - .offset:         102
        .size:           2
        .value_kind:     hidden_remainder_z
      - .offset:         120
        .size:           8
        .value_kind:     hidden_global_offset_x
      - .offset:         128
        .size:           8
        .value_kind:     hidden_global_offset_y
      - .offset:         136
        .size:           8
        .value_kind:     hidden_global_offset_z
      - .offset:         144
        .size:           2
        .value_kind:     hidden_grid_dims
    .group_segment_fixed_size: 0
    .kernarg_segment_align: 8
    .kernarg_segment_size: 336
    .language:       OpenCL C
    .language_version:
      - 2
      - 0
    .max_flat_workgroup_size: 256
    .name:           _ZL33flash_attn_stream_k_fixup_generalILi256ELi1ELi32EEvPfPK15HIP_vector_typeIfLj2EEiiiiS1_IjLj3EES5_S5_S5_
    .private_segment_fixed_size: 0
    .sgpr_count:     34
    .sgpr_spill_count: 0
    .symbol:         _ZL33flash_attn_stream_k_fixup_generalILi256ELi1ELi32EEvPfPK15HIP_vector_typeIfLj2EEiiiiS1_IjLj3EES5_S5_S5_.kd
    .uniform_work_group_size: 1
    .uses_dynamic_stack: false
    .vgpr_count:     17
    .vgpr_spill_count: 0
    .wavefront_size: 32
    .workgroup_processor_mode: 1
  - .args:
      - .address_space:  global
        .offset:         0
        .size:           8
        .value_kind:     global_buffer
      - .address_space:  global
        .offset:         8
        .size:           8
        .value_kind:     global_buffer
      - .address_space:  global
        .offset:         16
        .size:           8
        .value_kind:     global_buffer
      - .offset:         24
        .size:           4
        .value_kind:     by_value
      - .offset:         32
        .size:           4
        .value_kind:     hidden_block_count_x
      - .offset:         36
        .size:           4
        .value_kind:     hidden_block_count_y
      - .offset:         40
        .size:           4
        .value_kind:     hidden_block_count_z
      - .offset:         44
        .size:           2
        .value_kind:     hidden_group_size_x
      - .offset:         46
        .size:           2
        .value_kind:     hidden_group_size_y
      - .offset:         48
        .size:           2
        .value_kind:     hidden_group_size_z
      - .offset:         50
        .size:           2
        .value_kind:     hidden_remainder_x
      - .offset:         52
        .size:           2
        .value_kind:     hidden_remainder_y
      - .offset:         54
        .size:           2
        .value_kind:     hidden_remainder_z
      - .offset:         72
        .size:           8
        .value_kind:     hidden_global_offset_x
      - .offset:         80
        .size:           8
        .value_kind:     hidden_global_offset_y
      - .offset:         88
        .size:           8
        .value_kind:     hidden_global_offset_z
      - .offset:         96
        .size:           2
        .value_kind:     hidden_grid_dims
      - .offset:         152
        .size:           4
        .value_kind:     hidden_dynamic_lds_size
    .group_segment_fixed_size: 0
    .kernarg_segment_align: 8
    .kernarg_segment_size: 288
    .language:       OpenCL C
    .language_version:
      - 2
      - 0
    .max_flat_workgroup_size: 256
    .name:           _ZL26flash_attn_combine_resultsILi256EEvPKfPK15HIP_vector_typeIfLj2EEPfi
    .private_segment_fixed_size: 0
    .sgpr_count:     20
    .sgpr_spill_count: 0
    .symbol:         _ZL26flash_attn_combine_resultsILi256EEvPKfPK15HIP_vector_typeIfLj2EEPfi.kd
    .uniform_work_group_size: 1
    .uses_dynamic_stack: false
    .vgpr_count:     52
    .vgpr_spill_count: 0
    .wavefront_size: 32
    .workgroup_processor_mode: 1
  - .args:
      - .address_space:  global
        .offset:         0
        .size:           8
        .value_kind:     global_buffer
      - .address_space:  global
        .offset:         8
        .size:           8
        .value_kind:     global_buffer
      - .address_space:  global
        .offset:         16
        .size:           8
        .value_kind:     global_buffer
      - .address_space:  global
        .offset:         24
        .size:           8
        .value_kind:     global_buffer
      - .address_space:  global
        .offset:         32
        .size:           8
        .value_kind:     global_buffer
      - .address_space:  global
        .offset:         40
        .size:           8
        .value_kind:     global_buffer
      - .address_space:  global
        .offset:         48
        .size:           8
        .value_kind:     global_buffer
      - .address_space:  global
        .offset:         56
        .size:           8
        .value_kind:     global_buffer
      - .offset:         64
        .size:           4
        .value_kind:     by_value
      - .offset:         68
        .size:           4
        .value_kind:     by_value
      - .offset:         72
        .size:           4
        .value_kind:     by_value
      - .offset:         76
        .size:           4
        .value_kind:     by_value
      - .offset:         80
        .size:           4
        .value_kind:     by_value
      - .offset:         84
        .size:           4
        .value_kind:     by_value
      - .offset:         88
        .size:           4
        .value_kind:     by_value
      - .offset:         92
        .size:           12
        .value_kind:     by_value
      - .offset:         104
        .size:           4
        .value_kind:     by_value
      - .offset:         108
        .size:           4
        .value_kind:     by_value
      - .offset:         112
        .size:           4
        .value_kind:     by_value
      - .offset:         116
        .size:           4
        .value_kind:     by_value
      - .offset:         120
        .size:           4
        .value_kind:     by_value
      - .offset:         124
        .size:           4
        .value_kind:     by_value
      - .offset:         128
        .size:           4
        .value_kind:     by_value
      - .offset:         132
        .size:           4
        .value_kind:     by_value
      - .offset:         136
        .size:           4
        .value_kind:     by_value
      - .offset:         140
        .size:           4
        .value_kind:     by_value
      - .offset:         144
        .size:           4
        .value_kind:     by_value
      - .offset:         152
        .size:           8
        .value_kind:     by_value
      - .offset:         160
        .size:           4
        .value_kind:     by_value
      - .offset:         164
        .size:           4
        .value_kind:     by_value
      - .offset:         168
        .size:           8
        .value_kind:     by_value
      - .offset:         176
        .size:           4
        .value_kind:     by_value
      - .offset:         180
        .size:           4
        .value_kind:     by_value
      - .offset:         184
        .size:           4
        .value_kind:     by_value
      - .offset:         188
        .size:           4
        .value_kind:     by_value
      - .offset:         192
        .size:           4
        .value_kind:     by_value
      - .offset:         200
        .size:           8
        .value_kind:     by_value
      - .offset:         208
        .size:           4
        .value_kind:     hidden_block_count_x
      - .offset:         212
        .size:           4
        .value_kind:     hidden_block_count_y
      - .offset:         216
        .size:           4
        .value_kind:     hidden_block_count_z
      - .offset:         220
        .size:           2
        .value_kind:     hidden_group_size_x
      - .offset:         222
        .size:           2
        .value_kind:     hidden_group_size_y
      - .offset:         224
        .size:           2
        .value_kind:     hidden_group_size_z
      - .offset:         226
        .size:           2
        .value_kind:     hidden_remainder_x
      - .offset:         228
        .size:           2
        .value_kind:     hidden_remainder_y
      - .offset:         230
        .size:           2
        .value_kind:     hidden_remainder_z
      - .offset:         248
        .size:           8
        .value_kind:     hidden_global_offset_x
      - .offset:         256
        .size:           8
        .value_kind:     hidden_global_offset_y
      - .offset:         264
        .size:           8
        .value_kind:     hidden_global_offset_z
      - .offset:         272
        .size:           2
        .value_kind:     hidden_grid_dims
    .group_segment_fixed_size: 47104
    .kernarg_segment_align: 8
    .kernarg_segment_size: 464
    .language:       OpenCL C
    .language_version:
      - 2
      - 0
    .max_flat_workgroup_size: 256
    .name:           _ZL15flash_attn_tileILi320ELi256ELi1ELi32ELb1EEvPKcS1_S1_S1_S1_PKiPfP15HIP_vector_typeIfLj2EEffffjfiS5_IjLj3EEiiiiiiiiiiiliiliiiiil
    .private_segment_fixed_size: 0
    .sgpr_count:     42
    .sgpr_spill_count: 0
    .symbol:         _ZL15flash_attn_tileILi320ELi256ELi1ELi32ELb1EEvPKcS1_S1_S1_S1_PKiPfP15HIP_vector_typeIfLj2EEffffjfiS5_IjLj3EEiiiiiiiiiiiliiliiiiil.kd
    .uniform_work_group_size: 1
    .uses_dynamic_stack: false
    .vgpr_count:     195
    .vgpr_spill_count: 0
    .wavefront_size: 32
    .workgroup_processor_mode: 1
amdhsa.target:   amdgcn-amd-amdhsa--gfx1030
amdhsa.version:
  - 1
  - 2
...

	.end_amdgpu_metadata
